;; amdgpu-corpus repo=ROCm/rocSOLVER kind=compiled arch=gfx1030 opt=O3
	.amdgcn_target "amdgcn-amd-amdhsa--gfx1030"
	.amdhsa_code_object_version 6
	.section	.text._ZN9rocsolver6v33100L10reset_infoIiiiEEvPT_T0_T1_S4_,"axG",@progbits,_ZN9rocsolver6v33100L10reset_infoIiiiEEvPT_T0_T1_S4_,comdat
	.globl	_ZN9rocsolver6v33100L10reset_infoIiiiEEvPT_T0_T1_S4_ ; -- Begin function _ZN9rocsolver6v33100L10reset_infoIiiiEEvPT_T0_T1_S4_
	.p2align	8
	.type	_ZN9rocsolver6v33100L10reset_infoIiiiEEvPT_T0_T1_S4_,@function
_ZN9rocsolver6v33100L10reset_infoIiiiEEvPT_T0_T1_S4_: ; @_ZN9rocsolver6v33100L10reset_infoIiiiEEvPT_T0_T1_S4_
; %bb.0:
	s_clause 0x1
	s_load_dword s7, s[4:5], 0x24
	s_load_dwordx4 s[0:3], s[4:5], 0x8
	s_waitcnt lgkmcnt(0)
	s_and_b32 s3, s7, 0xffff
	v_mad_u64_u32 v[0:1], null, s6, s3, v[0:1]
	v_cmp_gt_i32_e32 vcc_lo, s0, v0
	s_and_saveexec_b32 s0, vcc_lo
	s_cbranch_execz .LBB0_2
; %bb.1:
	s_load_dwordx2 s[4:5], s[4:5], 0x0
	v_ashrrev_i32_e32 v1, 31, v0
	s_mov_b32 s0, s1
	v_mad_u64_u32 v[3:4], null, v0, s2, s[0:1]
	v_lshlrev_b64 v[1:2], 2, v[0:1]
	s_waitcnt lgkmcnt(0)
	v_add_co_u32 v0, vcc_lo, s4, v1
	v_add_co_ci_u32_e64 v1, null, s5, v2, vcc_lo
	global_store_dword v[0:1], v3, off
.LBB0_2:
	s_endpgm
	.section	.rodata,"a",@progbits
	.p2align	6, 0x0
	.amdhsa_kernel _ZN9rocsolver6v33100L10reset_infoIiiiEEvPT_T0_T1_S4_
		.amdhsa_group_segment_fixed_size 0
		.amdhsa_private_segment_fixed_size 0
		.amdhsa_kernarg_size 280
		.amdhsa_user_sgpr_count 6
		.amdhsa_user_sgpr_private_segment_buffer 1
		.amdhsa_user_sgpr_dispatch_ptr 0
		.amdhsa_user_sgpr_queue_ptr 0
		.amdhsa_user_sgpr_kernarg_segment_ptr 1
		.amdhsa_user_sgpr_dispatch_id 0
		.amdhsa_user_sgpr_flat_scratch_init 0
		.amdhsa_user_sgpr_private_segment_size 0
		.amdhsa_wavefront_size32 1
		.amdhsa_uses_dynamic_stack 0
		.amdhsa_system_sgpr_private_segment_wavefront_offset 0
		.amdhsa_system_sgpr_workgroup_id_x 1
		.amdhsa_system_sgpr_workgroup_id_y 0
		.amdhsa_system_sgpr_workgroup_id_z 0
		.amdhsa_system_sgpr_workgroup_info 0
		.amdhsa_system_vgpr_workitem_id 0
		.amdhsa_next_free_vgpr 5
		.amdhsa_next_free_sgpr 8
		.amdhsa_reserve_vcc 1
		.amdhsa_reserve_flat_scratch 0
		.amdhsa_float_round_mode_32 0
		.amdhsa_float_round_mode_16_64 0
		.amdhsa_float_denorm_mode_32 3
		.amdhsa_float_denorm_mode_16_64 3
		.amdhsa_dx10_clamp 1
		.amdhsa_ieee_mode 1
		.amdhsa_fp16_overflow 0
		.amdhsa_workgroup_processor_mode 1
		.amdhsa_memory_ordered 1
		.amdhsa_forward_progress 1
		.amdhsa_shared_vgpr_count 0
		.amdhsa_exception_fp_ieee_invalid_op 0
		.amdhsa_exception_fp_denorm_src 0
		.amdhsa_exception_fp_ieee_div_zero 0
		.amdhsa_exception_fp_ieee_overflow 0
		.amdhsa_exception_fp_ieee_underflow 0
		.amdhsa_exception_fp_ieee_inexact 0
		.amdhsa_exception_int_div_zero 0
	.end_amdhsa_kernel
	.section	.text._ZN9rocsolver6v33100L10reset_infoIiiiEEvPT_T0_T1_S4_,"axG",@progbits,_ZN9rocsolver6v33100L10reset_infoIiiiEEvPT_T0_T1_S4_,comdat
.Lfunc_end0:
	.size	_ZN9rocsolver6v33100L10reset_infoIiiiEEvPT_T0_T1_S4_, .Lfunc_end0-_ZN9rocsolver6v33100L10reset_infoIiiiEEvPT_T0_T1_S4_
                                        ; -- End function
	.set _ZN9rocsolver6v33100L10reset_infoIiiiEEvPT_T0_T1_S4_.num_vgpr, 5
	.set _ZN9rocsolver6v33100L10reset_infoIiiiEEvPT_T0_T1_S4_.num_agpr, 0
	.set _ZN9rocsolver6v33100L10reset_infoIiiiEEvPT_T0_T1_S4_.numbered_sgpr, 8
	.set _ZN9rocsolver6v33100L10reset_infoIiiiEEvPT_T0_T1_S4_.num_named_barrier, 0
	.set _ZN9rocsolver6v33100L10reset_infoIiiiEEvPT_T0_T1_S4_.private_seg_size, 0
	.set _ZN9rocsolver6v33100L10reset_infoIiiiEEvPT_T0_T1_S4_.uses_vcc, 1
	.set _ZN9rocsolver6v33100L10reset_infoIiiiEEvPT_T0_T1_S4_.uses_flat_scratch, 0
	.set _ZN9rocsolver6v33100L10reset_infoIiiiEEvPT_T0_T1_S4_.has_dyn_sized_stack, 0
	.set _ZN9rocsolver6v33100L10reset_infoIiiiEEvPT_T0_T1_S4_.has_recursion, 0
	.set _ZN9rocsolver6v33100L10reset_infoIiiiEEvPT_T0_T1_S4_.has_indirect_call, 0
	.section	.AMDGPU.csdata,"",@progbits
; Kernel info:
; codeLenInByte = 116
; TotalNumSgprs: 10
; NumVgprs: 5
; ScratchSize: 0
; MemoryBound: 0
; FloatMode: 240
; IeeeMode: 1
; LDSByteSize: 0 bytes/workgroup (compile time only)
; SGPRBlocks: 0
; VGPRBlocks: 0
; NumSGPRsForWavesPerEU: 10
; NumVGPRsForWavesPerEU: 5
; Occupancy: 16
; WaveLimiterHint : 0
; COMPUTE_PGM_RSRC2:SCRATCH_EN: 0
; COMPUTE_PGM_RSRC2:USER_SGPR: 6
; COMPUTE_PGM_RSRC2:TRAP_HANDLER: 0
; COMPUTE_PGM_RSRC2:TGID_X_EN: 1
; COMPUTE_PGM_RSRC2:TGID_Y_EN: 0
; COMPUTE_PGM_RSRC2:TGID_Z_EN: 0
; COMPUTE_PGM_RSRC2:TIDIG_COMP_CNT: 0
	.section	.text._ZN9rocsolver6v33100L18lasyf_kernel_upperIfPfEEviiPiT0_iilS3_lS3_PT_,"axG",@progbits,_ZN9rocsolver6v33100L18lasyf_kernel_upperIfPfEEviiPiT0_iilS3_lS3_PT_,comdat
	.globl	_ZN9rocsolver6v33100L18lasyf_kernel_upperIfPfEEviiPiT0_iilS3_lS3_PT_ ; -- Begin function _ZN9rocsolver6v33100L18lasyf_kernel_upperIfPfEEviiPiT0_iilS3_lS3_PT_
	.p2align	8
	.type	_ZN9rocsolver6v33100L18lasyf_kernel_upperIfPfEEviiPiT0_iilS3_lS3_PT_,@function
_ZN9rocsolver6v33100L18lasyf_kernel_upperIfPfEEviiPiT0_iilS3_lS3_PT_: ; @_ZN9rocsolver6v33100L18lasyf_kernel_upperIfPfEEviiPiT0_iilS3_lS3_PT_
; %bb.0:
	v_cmp_eq_u32_e64 s0, 0, v0
	s_mov_b32 s26, s7
	s_and_saveexec_b32 s1, s0
; %bb.1:
	v_mov_b32_e32 v1, 0
	ds_write_b32 v1, v1 offset:2052
; %bb.2:
	s_or_b32 exec_lo, exec_lo, s1
	s_clause 0x4
	s_load_dwordx2 s[20:21], s[4:5], 0x18
	s_load_dwordx8 s[8:15], s[4:5], 0x20
	s_load_dwordx2 s[22:23], s[4:5], 0x0
	s_load_dwordx4 s[16:19], s[4:5], 0x8
	s_load_dwordx2 s[24:25], s[4:5], 0x40
	s_ashr_i32 s27, s26, 31
	v_lshlrev_b32_e32 v12, 2, v0
	v_add_nc_u32_e32 v11, 1, v0
	s_waitcnt lgkmcnt(0)
	s_ashr_i32 s3, s20, 31
	s_mul_hi_u32 s1, s8, s26
	s_mul_i32 s5, s8, s27
	s_mul_i32 s6, s9, s26
	s_add_i32 s1, s1, s5
	s_mul_i32 s4, s8, s26
	s_add_i32 s5, s1, s6
	s_mov_b32 s2, s20
	s_lshl_b64 s[8:9], s[4:5], 2
	s_mul_hi_u32 s1, s12, s26
	s_add_u32 s5, s18, s8
	s_addc_u32 s6, s19, s9
	s_lshl_b64 s[28:29], s[2:3], 2
	s_mul_i32 s4, s12, s27
	s_add_u32 s20, s5, s28
	s_mul_i32 s3, s13, s26
	s_addc_u32 s33, s6, s29
	s_add_i32 s1, s1, s4
	s_mul_i32 s7, s22, s26
	s_mul_i32 s2, s12, s26
	s_add_i32 s3, s1, s3
	s_mul_i32 s12, s7, s23
	s_lshl_b64 s[2:3], s[2:3], 2
	s_ashr_i32 s13, s12, 31
	s_add_u32 s40, s10, s2
	s_addc_u32 s41, s11, s3
	s_add_i32 s42, s22, -1
	s_mov_b32 s1, s23
	s_cmp_lt_i32 s42, 0
	s_mov_b32 s10, s42
	s_cbranch_scc1 .LBB1_219
; %bb.3:
	s_lshl_b64 s[2:3], s[12:13], 2
	s_sub_i32 s43, s23, s22
	s_add_u32 s44, s24, s2
	s_addc_u32 s45, s25, s3
	s_add_i32 s54, s23, -1
	s_sub_i32 s46, s22, s23
	s_cmp_eq_u32 s23, s22
	v_add_nc_u32_e32 v1, s23, v0
	s_cselect_b32 s6, -1, 0
	s_add_i32 s47, s21, 1
	s_lshl_b32 s48, s22, 1
	s_add_u32 s3, s8, s28
	s_addc_u32 s4, s9, s29
	s_add_u32 s49, s18, s3
	s_addc_u32 s50, s19, s4
	s_ashr_i32 s5, s22, 31
	s_mov_b32 s4, s22
	v_subrev_nc_u32_e32 v1, s22, v1
	s_lshl_b64 s[30:31], s[4:5], 2
	s_ashr_i32 s5, s21, 31
	s_mov_b32 s4, s21
	v_add_co_u32 v14, s7, s49, v12
	s_lshl_b64 s[34:35], s[4:5], 2
	v_add_co_u32 v16, s4, s44, v12
	v_add_co_ci_u32_e64 v17, null, s45, 0, s4
	v_or_b32_e32 v13, 0x400, v12
	v_add_co_u32 v18, vcc_lo, v16, 4
	v_cmp_gt_u32_e64 s1, 0x80, v0
	v_cmp_gt_u32_e64 s2, 64, v0
	;; [unrolled: 1-line block ×3, first 2 shown]
	v_mov_b32_e32 v2, 0
	v_add_co_ci_u32_e64 v15, null, s50, 0, s7
	v_add_co_ci_u32_e64 v19, null, 0, v17, vcc_lo
	v_add_nc_u32_e32 v20, 1, v1
	s_lshl_b32 s51, s21, 8
	s_lshl_b32 s52, s22, 8
	s_mov_b32 s11, 0
	s_xor_b32 s53, s6, -1
	s_mov_b32 s10, s42
	s_branch .LBB1_6
.LBB1_4:                                ;   in Loop: Header=BB1_6 Depth=1
	s_or_b32 exec_lo, exec_lo, s36
	s_add_i32 s10, s7, s10
	s_add_i32 s54, s10, s43
	s_cmp_lt_i32 s10, 0
	s_cselect_b32 s4, -1, 0
.LBB1_5:                                ;   in Loop: Header=BB1_6 Depth=1
	s_and_b32 vcc_lo, exec_lo, s4
	s_cbranch_vccnz .LBB1_218
.LBB1_6:                                ; =>This Loop Header: Depth=1
                                        ;     Child Loop BB1_9 Depth 2
                                        ;     Child Loop BB1_16 Depth 2
                                        ;       Child Loop BB1_18 Depth 3
                                        ;     Child Loop BB1_22 Depth 2
                                        ;     Child Loop BB1_67 Depth 2
	;; [unrolled: 1-line block ×4, first 2 shown]
                                        ;       Child Loop BB1_79 Depth 3
                                        ;     Child Loop BB1_84 Depth 2
                                        ;     Child Loop BB1_128 Depth 2
	;; [unrolled: 1-line block ×9, first 2 shown]
	s_cmp_le_i32 s10, s46
	s_cselect_b32 s4, -1, 0
	s_and_b32 s4, s53, s4
	s_and_b32 vcc_lo, exec_lo, s4
	s_mov_b32 s4, -1
	s_cbranch_vccnz .LBB1_5
; %bb.7:                                ;   in Loop: Header=BB1_6 Depth=1
	v_cmp_ge_i32_e64 s5, s10, v0
	s_and_saveexec_b32 s6, s5
	s_cbranch_execz .LBB1_10
; %bb.8:                                ;   in Loop: Header=BB1_6 Depth=1
	v_mad_u64_u32 v[3:4], null, s54, s22, v[0:1]
	v_mad_u64_u32 v[5:6], null, s10, s21, v[0:1]
	v_mov_b32_e32 v1, v0
	s_mov_b32 s7, 0
	v_ashrrev_i32_e32 v4, 31, v3
	v_ashrrev_i32_e32 v6, 31, v5
	v_lshlrev_b64 v[3:4], 2, v[3:4]
	v_lshlrev_b64 v[5:6], 2, v[5:6]
	v_add_co_u32 v3, vcc_lo, s44, v3
	v_add_co_ci_u32_e64 v4, null, s45, v4, vcc_lo
	v_add_co_u32 v5, vcc_lo, s49, v5
	v_add_co_ci_u32_e64 v6, null, s50, v6, vcc_lo
	.p2align	6
.LBB1_9:                                ;   Parent Loop BB1_6 Depth=1
                                        ; =>  This Inner Loop Header: Depth=2
	global_load_dword v7, v[5:6], off
	v_add_nc_u32_e32 v1, 0x100, v1
	v_add_co_u32 v5, vcc_lo, 0x400, v5
	v_add_co_ci_u32_e64 v6, null, 0, v6, vcc_lo
	v_cmp_lt_i32_e32 vcc_lo, s10, v1
	s_or_b32 s7, vcc_lo, s7
	s_waitcnt vmcnt(0)
	global_store_dword v[3:4], v7, off
	v_add_co_u32 v3, s4, 0x400, v3
	v_add_co_ci_u32_e64 v4, null, 0, v4, s4
	s_andn2_b32 exec_lo, exec_lo, s7
	s_cbranch_execnz .LBB1_9
.LBB1_10:                               ;   in Loop: Header=BB1_6 Depth=1
	s_or_b32 exec_lo, exec_lo, s6
	s_cmp_ge_i32 s10, s42
	s_mov_b32 s4, -1
	s_cselect_b32 s55, -1, 0
	s_cmp_lt_i32 s10, s42
	s_waitcnt_vscnt null, 0x0
	s_barrier
	buffer_gl0_inv
                                        ; implicit-def: $sgpr36
	s_cbranch_scc1 .LBB1_12
; %bb.11:                               ;   in Loop: Header=BB1_6 Depth=1
	s_mul_i32 s36, s54, s22
	s_mov_b32 s4, 0
	s_ashr_i32 s37, s36, 31
.LBB1_12:                               ;   in Loop: Header=BB1_6 Depth=1
	s_andn2_b32 vcc_lo, exec_lo, s4
	s_cbranch_vccnz .LBB1_20
; %bb.13:                               ;   in Loop: Header=BB1_6 Depth=1
	s_mul_i32 s36, s54, s22
	s_ashr_i32 s37, s36, 31
	s_and_saveexec_b32 s56, s5
	s_cbranch_execz .LBB1_19
; %bb.14:                               ;   in Loop: Header=BB1_6 Depth=1
	s_add_i32 s6, s10, 1
	s_not_b32 s4, s10
	s_mul_i32 s38, s6, s21
	s_lshl_b64 s[6:7], s[10:11], 2
	s_add_i32 s57, s22, s4
	s_ashr_i32 s39, s38, 31
	s_add_u32 s4, s44, s6
	s_addc_u32 s58, s45, s7
	s_add_i32 s6, s54, 1
	v_mov_b32_e32 v1, v0
	s_mul_i32 s6, s6, s22
	s_mov_b32 s61, 0
	s_ashr_i32 s7, s6, 31
	s_lshl_b64 s[6:7], s[6:7], 2
	s_add_u32 s6, s4, s6
	s_addc_u32 s7, s58, s7
	s_lshl_b64 s[58:59], s[36:37], 2
	s_add_u32 s58, s44, s58
	s_addc_u32 s59, s45, s59
	s_cmp_gt_i32 s57, 0
	s_cselect_b32 s60, -1, 0
	s_lshl_b64 s[38:39], s[38:39], 2
	v_add_co_u32 v3, vcc_lo, v14, s38
	v_add_co_ci_u32_e64 v4, null, s39, v15, vcc_lo
	s_inst_prefetch 0x1
	s_branch .LBB1_16
	.p2align	6
.LBB1_15:                               ;   in Loop: Header=BB1_16 Depth=2
	v_lshlrev_b64 v[5:6], 2, v[1:2]
	v_add_nc_u32_e32 v1, 0x100, v1
	v_add_co_u32 v3, s4, 0x400, v3
	v_add_co_ci_u32_e64 v4, null, 0, v4, s4
	v_add_co_u32 v5, vcc_lo, s58, v5
	v_add_co_ci_u32_e64 v6, null, s59, v6, vcc_lo
	v_cmp_lt_i32_e32 vcc_lo, s10, v1
	global_load_dword v8, v[5:6], off
	s_or_b32 s61, vcc_lo, s61
	s_waitcnt vmcnt(0)
	v_sub_f32_e32 v7, v8, v7
	global_store_dword v[5:6], v7, off
	s_andn2_b32 exec_lo, exec_lo, s61
	s_cbranch_execz .LBB1_19
.LBB1_16:                               ;   Parent Loop BB1_6 Depth=1
                                        ; =>  This Loop Header: Depth=2
                                        ;       Child Loop BB1_18 Depth 3
	v_mov_b32_e32 v7, 0
	s_andn2_b32 vcc_lo, exec_lo, s60
	s_cbranch_vccnz .LBB1_15
; %bb.17:                               ;   in Loop: Header=BB1_16 Depth=2
	v_mov_b32_e32 v6, v4
	v_mov_b32_e32 v5, v3
	s_mov_b64 s[38:39], s[6:7]
	s_mov_b32 s4, s57
.LBB1_18:                               ;   Parent Loop BB1_6 Depth=1
                                        ;     Parent Loop BB1_16 Depth=2
                                        ; =>    This Inner Loop Header: Depth=3
	global_load_dword v8, v[5:6], off
	global_load_dword v9, v2, s[38:39]
	v_add_co_u32 v5, vcc_lo, v5, s34
	s_add_i32 s4, s4, -1
	v_add_co_ci_u32_e64 v6, null, s35, v6, vcc_lo
	s_add_u32 s38, s38, s30
	s_addc_u32 s39, s39, s31
	s_cmp_eq_u32 s4, 0
	s_waitcnt vmcnt(0)
	v_fmac_f32_e32 v7, v8, v9
	s_cbranch_scc0 .LBB1_18
	s_branch .LBB1_15
.LBB1_19:                               ;   in Loop: Header=BB1_6 Depth=1
	s_inst_prefetch 0x2
	s_or_b32 exec_lo, exec_lo, s56
	s_waitcnt_vscnt null, 0x0
	s_barrier
	buffer_gl0_inv
.LBB1_20:                               ;   in Loop: Header=BB1_6 Depth=1
	v_cmp_gt_i32_e64 s4, s10, v0
	v_mov_b32_e32 v1, 0
	v_bfrev_b32_e32 v5, -2
	s_and_saveexec_b32 s7, s4
	s_cbranch_execz .LBB1_24
; %bb.21:                               ;   in Loop: Header=BB1_6 Depth=1
	s_lshl_b64 s[38:39], s[36:37], 2
	v_mov_b32_e32 v1, 0
	v_add_co_u32 v3, vcc_lo, v16, s38
	v_add_co_ci_u32_e64 v4, null, s39, v17, vcc_lo
	v_bfrev_b32_e32 v5, -2
	v_mov_b32_e32 v6, v0
	s_mov_b32 s37, 0
	.p2align	6
.LBB1_22:                               ;   Parent Loop BB1_6 Depth=1
                                        ; =>  This Inner Loop Header: Depth=2
	global_load_dword v7, v[3:4], off
	v_cmp_eq_u32_e32 vcc_lo, 0x7fffffff, v5
	v_add_nc_u32_e32 v8, 1, v6
	v_add_nc_u32_e32 v6, 0x100, v6
	v_add_co_u32 v3, s6, 0x400, v3
	v_add_co_ci_u32_e64 v4, null, 0, v4, s6
	v_cmp_le_i32_e64 s6, s10, v6
	s_waitcnt vmcnt(0)
	v_cmp_lt_f32_e64 s38, v1, |v7|
	s_or_b32 vcc_lo, s38, vcc_lo
	s_or_b32 s37, s6, s37
	v_cndmask_b32_e64 v1, v1, |v7|, vcc_lo
	v_cndmask_b32_e32 v5, v5, v8, vcc_lo
	s_andn2_b32 exec_lo, exec_lo, s37
	s_cbranch_execnz .LBB1_22
; %bb.23:                               ;   in Loop: Header=BB1_6 Depth=1
	s_or_b32 exec_lo, exec_lo, s37
.LBB1_24:                               ;   in Loop: Header=BB1_6 Depth=1
	s_or_b32 exec_lo, exec_lo, s7
	s_cmp_lt_i32 s10, 2
	ds_write_b32 v13, v1
	ds_write_b32 v12, v5
	s_waitcnt lgkmcnt(0)
	s_barrier
	buffer_gl0_inv
	s_cbranch_scc1 .LBB1_61
; %bb.25:                               ;   in Loop: Header=BB1_6 Depth=1
	s_and_saveexec_b32 s7, s1
	s_cbranch_execz .LBB1_31
; %bb.26:                               ;   in Loop: Header=BB1_6 Depth=1
	ds_read_b32 v3, v13 offset:512
	ds_read_b32 v4, v12 offset:512
	s_mov_b32 s38, exec_lo
	s_waitcnt lgkmcnt(1)
	v_cmp_lt_f32_e64 s37, v1, v3
	v_cmpx_nlt_f32_e32 v1, v3
	s_cbranch_execz .LBB1_28
; %bb.27:                               ;   in Loop: Header=BB1_6 Depth=1
	v_cmp_eq_f32_e32 vcc_lo, v1, v3
	s_waitcnt lgkmcnt(0)
	v_cmp_gt_i32_e64 s6, v5, v4
	s_andn2_b32 s37, s37, exec_lo
	s_and_b32 s6, vcc_lo, s6
	s_and_b32 s6, s6, exec_lo
	s_or_b32 s37, s37, s6
.LBB1_28:                               ;   in Loop: Header=BB1_6 Depth=1
	s_or_b32 exec_lo, exec_lo, s38
	s_and_saveexec_b32 s6, s37
	s_cbranch_execz .LBB1_30
; %bb.29:                               ;   in Loop: Header=BB1_6 Depth=1
	s_waitcnt lgkmcnt(0)
	v_mov_b32_e32 v5, v4
	v_mov_b32_e32 v1, v3
	ds_write_b32 v13, v3
	ds_write_b32 v12, v4
.LBB1_30:                               ;   in Loop: Header=BB1_6 Depth=1
	s_or_b32 exec_lo, exec_lo, s6
.LBB1_31:                               ;   in Loop: Header=BB1_6 Depth=1
	s_or_b32 exec_lo, exec_lo, s7
	s_waitcnt lgkmcnt(0)
	s_barrier
	buffer_gl0_inv
	s_and_saveexec_b32 s7, s2
	s_cbranch_execz .LBB1_37
; %bb.32:                               ;   in Loop: Header=BB1_6 Depth=1
	ds_read_b32 v3, v13 offset:256
	ds_read_b32 v4, v12 offset:256
	s_mov_b32 s38, exec_lo
	s_waitcnt lgkmcnt(1)
	v_cmp_lt_f32_e64 s37, v1, v3
	v_cmpx_nlt_f32_e32 v1, v3
	s_cbranch_execz .LBB1_34
; %bb.33:                               ;   in Loop: Header=BB1_6 Depth=1
	v_cmp_eq_f32_e32 vcc_lo, v1, v3
	s_waitcnt lgkmcnt(0)
	v_cmp_gt_i32_e64 s6, v5, v4
	s_andn2_b32 s37, s37, exec_lo
	s_and_b32 s6, vcc_lo, s6
	s_and_b32 s6, s6, exec_lo
	s_or_b32 s37, s37, s6
.LBB1_34:                               ;   in Loop: Header=BB1_6 Depth=1
	s_or_b32 exec_lo, exec_lo, s38
	s_and_saveexec_b32 s6, s37
	s_cbranch_execz .LBB1_36
; %bb.35:                               ;   in Loop: Header=BB1_6 Depth=1
	s_waitcnt lgkmcnt(0)
	v_mov_b32_e32 v5, v4
	v_mov_b32_e32 v1, v3
	ds_write_b32 v13, v3
	ds_write_b32 v12, v4
.LBB1_36:                               ;   in Loop: Header=BB1_6 Depth=1
	s_or_b32 exec_lo, exec_lo, s6
.LBB1_37:                               ;   in Loop: Header=BB1_6 Depth=1
	s_or_b32 exec_lo, exec_lo, s7
	s_waitcnt lgkmcnt(0)
	s_barrier
	buffer_gl0_inv
	s_and_saveexec_b32 s37, s3
	s_cbranch_execz .LBB1_60
; %bb.38:                               ;   in Loop: Header=BB1_6 Depth=1
	ds_read_b32 v3, v13 offset:128
	ds_read_b32 v4, v12 offset:128
	s_mov_b32 s38, exec_lo
	s_waitcnt lgkmcnt(1)
	v_cmp_lt_f32_e64 s7, v1, v3
	v_cmpx_nlt_f32_e32 v1, v3
	s_cbranch_execz .LBB1_40
; %bb.39:                               ;   in Loop: Header=BB1_6 Depth=1
	v_cmp_eq_f32_e32 vcc_lo, v1, v3
	s_waitcnt lgkmcnt(0)
	v_cmp_gt_i32_e64 s6, v5, v4
	s_andn2_b32 s7, s7, exec_lo
	s_and_b32 s6, vcc_lo, s6
	s_and_b32 s6, s6, exec_lo
	s_or_b32 s7, s7, s6
.LBB1_40:                               ;   in Loop: Header=BB1_6 Depth=1
	s_or_b32 exec_lo, exec_lo, s38
	s_and_saveexec_b32 s6, s7
	s_cbranch_execz .LBB1_42
; %bb.41:                               ;   in Loop: Header=BB1_6 Depth=1
	v_mov_b32_e32 v1, v3
	s_waitcnt lgkmcnt(0)
	v_mov_b32_e32 v5, v4
	ds_write_b32 v13, v3
	ds_write_b32 v12, v4
.LBB1_42:                               ;   in Loop: Header=BB1_6 Depth=1
	s_or_b32 exec_lo, exec_lo, s6
	ds_read_b32 v3, v13 offset:64
	s_waitcnt lgkmcnt(1)
	ds_read_b32 v4, v12 offset:64
	s_mov_b32 s38, exec_lo
	s_waitcnt lgkmcnt(1)
	v_cmp_lt_f32_e64 s7, v1, v3
	v_cmpx_nlt_f32_e32 v1, v3
	s_cbranch_execz .LBB1_44
; %bb.43:                               ;   in Loop: Header=BB1_6 Depth=1
	v_cmp_eq_f32_e32 vcc_lo, v1, v3
	s_waitcnt lgkmcnt(0)
	v_cmp_gt_i32_e64 s6, v5, v4
	s_andn2_b32 s7, s7, exec_lo
	s_and_b32 s6, vcc_lo, s6
	s_and_b32 s6, s6, exec_lo
	s_or_b32 s7, s7, s6
.LBB1_44:                               ;   in Loop: Header=BB1_6 Depth=1
	s_or_b32 exec_lo, exec_lo, s38
	s_and_saveexec_b32 s6, s7
	s_cbranch_execz .LBB1_46
; %bb.45:                               ;   in Loop: Header=BB1_6 Depth=1
	v_mov_b32_e32 v1, v3
	s_waitcnt lgkmcnt(0)
	v_mov_b32_e32 v5, v4
	ds_write_b32 v13, v3
	ds_write_b32 v12, v4
.LBB1_46:                               ;   in Loop: Header=BB1_6 Depth=1
	s_or_b32 exec_lo, exec_lo, s6
	ds_read_b32 v3, v13 offset:32
	s_waitcnt lgkmcnt(1)
	;; [unrolled: 28-line block ×5, first 2 shown]
	ds_read_b32 v4, v12 offset:4
	s_waitcnt lgkmcnt(1)
	v_cmp_eq_f32_e32 vcc_lo, v1, v3
	s_waitcnt lgkmcnt(0)
	v_cmp_gt_i32_e64 s6, v5, v4
	v_cmp_lt_f32_e64 s7, v1, v3
	s_and_b32 s6, vcc_lo, s6
	s_or_b32 s6, s7, s6
	s_and_b32 exec_lo, exec_lo, s6
	s_cbranch_execz .LBB1_60
; %bb.59:                               ;   in Loop: Header=BB1_6 Depth=1
	ds_write_b32 v13, v3
	ds_write_b32 v12, v4
.LBB1_60:                               ;   in Loop: Header=BB1_6 Depth=1
	s_or_b32 exec_lo, exec_lo, s37
.LBB1_61:                               ;   in Loop: Header=BB1_6 Depth=1
	s_and_saveexec_b32 s6, s0
	s_cbranch_execz .LBB1_63
; %bb.62:                               ;   in Loop: Header=BB1_6 Depth=1
	s_add_i32 s38, s36, s10
	ds_read2st64_b32 v[3:4], v2 offset1:4
	s_ashr_i32 s39, s38, 31
	s_lshl_b64 s[38:39], s[38:39], 2
	s_add_u32 s38, s44, s38
	s_addc_u32 s39, s45, s39
	global_load_dword v1, v2, s[38:39]
	s_waitcnt lgkmcnt(0)
	v_add_nc_u32_e32 v5, -1, v3
	s_waitcnt vmcnt(0)
	v_and_b32_e32 v3, 0x7fffffff, v1
	ds_write_b32 v2, v5 offset:2048
	ds_write_b64 v2, v[3:4] offset:2056
.LBB1_63:                               ;   in Loop: Header=BB1_6 Depth=1
	s_or_b32 exec_lo, exec_lo, s6
	s_waitcnt lgkmcnt(0)
	s_barrier
	buffer_gl0_inv
	ds_read_b64 v[3:4], v2 offset:2056
	s_waitcnt lgkmcnt(0)
	v_cmp_lt_f32_e32 vcc_lo, v3, v4
	v_cndmask_b32_e32 v1, v3, v4, vcc_lo
	v_cmp_neq_f32_e32 vcc_lo, 0, v1
	s_cbranch_vccz .LBB1_80
; %bb.64:                               ;   in Loop: Header=BB1_6 Depth=1
	v_mul_f32_e32 v1, 0x3f23f07b, v4
	v_cmp_ge_f32_e32 vcc_lo, v3, v1
	s_cbranch_vccnz .LBB1_176
; %bb.65:                               ;   in Loop: Header=BB1_6 Depth=1
	ds_read_b32 v1, v2 offset:2048
	s_mov_b32 s7, exec_lo
	s_waitcnt lgkmcnt(0)
	v_cmpx_le_i32_e64 v0, v1
	s_cbranch_execz .LBB1_68
; %bb.66:                               ;   in Loop: Header=BB1_6 Depth=1
	v_mad_u64_u32 v[3:4], null, v1, s21, v[0:1]
	s_add_i32 s6, s54, -1
	v_mov_b32_e32 v7, v0
	v_mad_u64_u32 v[5:6], null, s6, s22, v[0:1]
	s_mov_b32 s37, 0
	v_ashrrev_i32_e32 v4, 31, v3
	v_ashrrev_i32_e32 v6, 31, v5
	v_lshlrev_b64 v[3:4], 2, v[3:4]
	v_lshlrev_b64 v[5:6], 2, v[5:6]
	v_add_co_u32 v3, vcc_lo, s49, v3
	v_add_co_ci_u32_e64 v4, null, s50, v4, vcc_lo
	v_add_co_u32 v5, vcc_lo, s44, v5
	v_add_co_ci_u32_e64 v6, null, s45, v6, vcc_lo
	.p2align	6
.LBB1_67:                               ;   Parent Loop BB1_6 Depth=1
                                        ; =>  This Inner Loop Header: Depth=2
	global_load_dword v8, v[3:4], off
	v_add_nc_u32_e32 v7, 0x100, v7
	v_add_co_u32 v3, vcc_lo, 0x400, v3
	v_add_co_ci_u32_e64 v4, null, 0, v4, vcc_lo
	v_cmp_gt_i32_e32 vcc_lo, v7, v1
	s_or_b32 s37, vcc_lo, s37
	s_waitcnt vmcnt(0)
	global_store_dword v[5:6], v8, off
	v_add_co_u32 v5, s6, 0x400, v5
	v_add_co_ci_u32_e64 v6, null, 0, v6, s6
	s_andn2_b32 exec_lo, exec_lo, s37
	s_cbranch_execnz .LBB1_67
.LBB1_68:                               ;   in Loop: Header=BB1_6 Depth=1
	s_or_b32 exec_lo, exec_lo, s7
	v_sub_nc_u32_e32 v5, s10, v1
	s_mov_b32 s7, exec_lo
	v_cmpx_lt_i32_e64 v0, v5
	s_cbranch_execz .LBB1_71
; %bb.69:                               ;   in Loop: Header=BB1_6 Depth=1
	s_add_i32 s6, s54, -1
	v_add_nc_u32_e32 v3, v11, v1
	s_mul_i32 s6, s6, s22
	s_mov_b32 s37, 0
	v_add_nc_u32_e32 v6, s6, v1
	v_mad_u64_u32 v[3:4], null, s21, v3, v[1:2]
	v_add_nc_u32_e32 v1, 1, v6
	v_mov_b32_e32 v6, v0
	.p2align	6
.LBB1_70:                               ;   Parent Loop BB1_6 Depth=1
                                        ; =>  This Inner Loop Header: Depth=2
	v_ashrrev_i32_e32 v4, 31, v3
	v_lshlrev_b64 v[7:8], 2, v[3:4]
	v_add_nc_u32_e32 v3, s51, v3
	v_add_co_u32 v7, vcc_lo, s20, v7
	v_add_co_ci_u32_e64 v8, null, s33, v8, vcc_lo
	global_load_dword v4, v[7:8], off
	v_add_nc_u32_e32 v7, v1, v6
	v_add_nc_u32_e32 v6, 0x100, v6
	v_ashrrev_i32_e32 v8, 31, v7
	v_cmp_ge_i32_e32 vcc_lo, v6, v5
	v_lshlrev_b64 v[7:8], 2, v[7:8]
	s_or_b32 s37, vcc_lo, s37
	v_add_co_u32 v7, s6, s44, v7
	v_add_co_ci_u32_e64 v8, null, s45, v8, s6
	s_waitcnt vmcnt(0)
	global_store_dword v[7:8], v4, off
	s_andn2_b32 exec_lo, exec_lo, s37
	s_cbranch_execnz .LBB1_70
.LBB1_71:                               ;   in Loop: Header=BB1_6 Depth=1
	s_or_b32 exec_lo, exec_lo, s7
	s_andn2_b32 vcc_lo, exec_lo, s55
	s_mov_b32 s6, -1
	s_waitcnt_vscnt null, 0x0
	s_barrier
	buffer_gl0_inv
                                        ; implicit-def: $sgpr38
	s_cbranch_vccnz .LBB1_73
; %bb.72:                               ;   in Loop: Header=BB1_6 Depth=1
	s_add_i32 s6, s54, -1
	s_mul_i32 s38, s6, s22
	s_mov_b32 s6, 0
	s_ashr_i32 s39, s38, 31
.LBB1_73:                               ;   in Loop: Header=BB1_6 Depth=1
	s_andn2_b32 vcc_lo, exec_lo, s6
	s_cbranch_vccnz .LBB1_82
; %bb.74:                               ;   in Loop: Header=BB1_6 Depth=1
	s_add_i32 s6, s54, 1
	s_mul_i32 s6, s6, s22
	s_sub_i32 s38, s6, s48
	s_ashr_i32 s39, s38, 31
	s_and_saveexec_b32 s37, s5
	s_cbranch_execz .LBB1_81
; %bb.75:                               ;   in Loop: Header=BB1_6 Depth=1
	ds_read_b32 v3, v2 offset:2048
	s_add_i32 s58, s10, 1
	s_not_b32 s55, s10
	s_ashr_i32 s7, s6, 31
	s_mul_i32 s58, s58, s21
	s_lshl_b64 s[56:57], s[38:39], 2
	s_add_i32 s55, s22, s55
	s_lshl_b64 s[60:61], s[6:7], 2
	s_ashr_i32 s59, s58, 31
	s_add_u32 s7, s44, s56
	s_addc_u32 s56, s45, s57
	s_cmp_gt_i32 s55, 0
	s_cselect_b32 s57, -1, 0
	s_lshl_b64 s[58:59], s[58:59], 2
	s_waitcnt lgkmcnt(0)
	v_ashrrev_i32_e32 v4, 31, v3
	v_lshlrev_b64 v[3:4], 2, v[3:4]
	v_add_co_u32 v1, vcc_lo, s44, v3
	v_add_co_ci_u32_e64 v6, null, s45, v4, vcc_lo
	v_add_co_u32 v3, vcc_lo, v14, s58
	v_add_co_ci_u32_e64 v4, null, s59, v15, vcc_lo
	;; [unrolled: 2-line block ×3, first 2 shown]
	v_mov_b32_e32 v1, v0
	s_mov_b32 s58, 0
	s_inst_prefetch 0x1
	s_branch .LBB1_77
	.p2align	6
.LBB1_76:                               ;   in Loop: Header=BB1_77 Depth=2
	v_lshlrev_b64 v[7:8], 2, v[1:2]
	v_add_nc_u32_e32 v1, 0x100, v1
	v_add_co_u32 v3, s6, 0x400, v3
	v_add_co_ci_u32_e64 v4, null, 0, v4, s6
	v_add_co_u32 v7, vcc_lo, s7, v7
	v_add_co_ci_u32_e64 v8, null, s56, v8, vcc_lo
	v_cmp_lt_i32_e32 vcc_lo, s10, v1
	global_load_dword v9, v[7:8], off
	s_or_b32 s58, vcc_lo, s58
	s_waitcnt vmcnt(0)
	v_sub_f32_e32 v9, v9, v21
	global_store_dword v[7:8], v9, off
	s_andn2_b32 exec_lo, exec_lo, s58
	s_cbranch_execz .LBB1_81
.LBB1_77:                               ;   Parent Loop BB1_6 Depth=1
                                        ; =>  This Loop Header: Depth=2
                                        ;       Child Loop BB1_79 Depth 3
	v_mov_b32_e32 v21, 0
	s_andn2_b32 vcc_lo, exec_lo, s57
	s_cbranch_vccnz .LBB1_76
; %bb.78:                               ;   in Loop: Header=BB1_77 Depth=2
	v_mov_b32_e32 v8, v4
	v_mov_b32_e32 v10, v6
	;; [unrolled: 1-line block ×4, first 2 shown]
	s_mov_b32 s6, s55
	.p2align	6
.LBB1_79:                               ;   Parent Loop BB1_6 Depth=1
                                        ;     Parent Loop BB1_77 Depth=2
                                        ; =>    This Inner Loop Header: Depth=3
	global_load_dword v22, v[7:8], off
	global_load_dword v23, v[9:10], off
	v_add_co_u32 v9, vcc_lo, v9, s30
	v_add_co_ci_u32_e64 v10, null, s31, v10, vcc_lo
	v_add_co_u32 v7, vcc_lo, v7, s34
	v_add_co_ci_u32_e64 v8, null, s35, v8, vcc_lo
	s_add_i32 s6, s6, -1
	s_cmp_eq_u32 s6, 0
	s_waitcnt vmcnt(0)
	v_fmac_f32_e32 v21, v22, v23
	s_cbranch_scc0 .LBB1_79
	s_branch .LBB1_76
.LBB1_80:                               ;   in Loop: Header=BB1_6 Depth=1
	s_mov_b32 s5, -1
                                        ; implicit-def: $sgpr6
                                        ; implicit-def: $sgpr7
                                        ; implicit-def: $sgpr37
	s_branch .LBB1_208
.LBB1_81:                               ;   in Loop: Header=BB1_6 Depth=1
	s_inst_prefetch 0x2
	s_or_b32 exec_lo, exec_lo, s37
	s_waitcnt_vscnt null, 0x0
	s_barrier
	buffer_gl0_inv
.LBB1_82:                               ;   in Loop: Header=BB1_6 Depth=1
	ds_read_b32 v3, v2 offset:2048
	v_mov_b32_e32 v1, 0
	v_bfrev_b32_e32 v5, -2
	s_mov_b32 s7, exec_lo
	s_waitcnt lgkmcnt(0)
	v_sub_nc_u32_e32 v6, s10, v3
	v_cmpx_lt_i32_e64 v0, v6
	s_cbranch_execz .LBB1_86
; %bb.83:                               ;   in Loop: Header=BB1_6 Depth=1
	v_ashrrev_i32_e32 v4, 31, v3
	s_lshl_b64 s[56:57], s[38:39], 2
	v_mov_b32_e32 v1, 0
	v_bfrev_b32_e32 v5, -2
	v_mov_b32_e32 v7, v0
	v_lshlrev_b64 v[3:4], 2, v[3:4]
	s_mov_b32 s37, 0
	v_add_co_u32 v3, vcc_lo, s56, v3
	v_add_co_ci_u32_e64 v4, null, s57, v4, vcc_lo
	v_add_co_u32 v3, vcc_lo, v18, v3
	v_add_co_ci_u32_e64 v4, null, v19, v4, vcc_lo
	.p2align	6
.LBB1_84:                               ;   Parent Loop BB1_6 Depth=1
                                        ; =>  This Inner Loop Header: Depth=2
	global_load_dword v8, v[3:4], off
	v_cmp_eq_u32_e32 vcc_lo, 0x7fffffff, v5
	v_add_nc_u32_e32 v9, 1, v7
	v_add_nc_u32_e32 v7, 0x100, v7
	v_add_co_u32 v3, s6, 0x400, v3
	v_add_co_ci_u32_e64 v4, null, 0, v4, s6
	v_cmp_ge_i32_e64 s6, v7, v6
	s_waitcnt vmcnt(0)
	v_cmp_lt_f32_e64 s55, v1, |v8|
	s_or_b32 vcc_lo, s55, vcc_lo
	s_or_b32 s37, s6, s37
	v_cndmask_b32_e64 v1, v1, |v8|, vcc_lo
	v_cndmask_b32_e32 v5, v5, v9, vcc_lo
	s_andn2_b32 exec_lo, exec_lo, s37
	s_cbranch_execnz .LBB1_84
; %bb.85:                               ;   in Loop: Header=BB1_6 Depth=1
	s_or_b32 exec_lo, exec_lo, s37
.LBB1_86:                               ;   in Loop: Header=BB1_6 Depth=1
	s_or_b32 exec_lo, exec_lo, s7
	v_cmp_gt_i32_e32 vcc_lo, 2, v6
	ds_write_b32 v13, v1
	ds_write_b32 v12, v5
	s_waitcnt lgkmcnt(0)
	s_barrier
	buffer_gl0_inv
	s_cbranch_vccnz .LBB1_123
; %bb.87:                               ;   in Loop: Header=BB1_6 Depth=1
	s_and_saveexec_b32 s7, s1
	s_cbranch_execz .LBB1_93
; %bb.88:                               ;   in Loop: Header=BB1_6 Depth=1
	ds_read_b32 v3, v13 offset:512
	ds_read_b32 v4, v12 offset:512
	s_mov_b32 s55, exec_lo
	s_waitcnt lgkmcnt(1)
	v_cmp_lt_f32_e64 s37, v1, v3
	v_cmpx_nlt_f32_e32 v1, v3
	s_cbranch_execz .LBB1_90
; %bb.89:                               ;   in Loop: Header=BB1_6 Depth=1
	v_cmp_eq_f32_e32 vcc_lo, v1, v3
	s_waitcnt lgkmcnt(0)
	v_cmp_gt_i32_e64 s6, v5, v4
	s_andn2_b32 s37, s37, exec_lo
	s_and_b32 s6, vcc_lo, s6
	s_and_b32 s6, s6, exec_lo
	s_or_b32 s37, s37, s6
.LBB1_90:                               ;   in Loop: Header=BB1_6 Depth=1
	s_or_b32 exec_lo, exec_lo, s55
	s_and_saveexec_b32 s6, s37
	s_cbranch_execz .LBB1_92
; %bb.91:                               ;   in Loop: Header=BB1_6 Depth=1
	s_waitcnt lgkmcnt(0)
	v_mov_b32_e32 v5, v4
	v_mov_b32_e32 v1, v3
	ds_write_b32 v13, v3
	ds_write_b32 v12, v4
.LBB1_92:                               ;   in Loop: Header=BB1_6 Depth=1
	s_or_b32 exec_lo, exec_lo, s6
.LBB1_93:                               ;   in Loop: Header=BB1_6 Depth=1
	s_or_b32 exec_lo, exec_lo, s7
	s_waitcnt lgkmcnt(0)
	s_barrier
	buffer_gl0_inv
	s_and_saveexec_b32 s7, s2
	s_cbranch_execz .LBB1_99
; %bb.94:                               ;   in Loop: Header=BB1_6 Depth=1
	ds_read_b32 v3, v13 offset:256
	ds_read_b32 v4, v12 offset:256
	s_mov_b32 s55, exec_lo
	s_waitcnt lgkmcnt(1)
	v_cmp_lt_f32_e64 s37, v1, v3
	v_cmpx_nlt_f32_e32 v1, v3
	s_cbranch_execz .LBB1_96
; %bb.95:                               ;   in Loop: Header=BB1_6 Depth=1
	v_cmp_eq_f32_e32 vcc_lo, v1, v3
	s_waitcnt lgkmcnt(0)
	v_cmp_gt_i32_e64 s6, v5, v4
	s_andn2_b32 s37, s37, exec_lo
	s_and_b32 s6, vcc_lo, s6
	s_and_b32 s6, s6, exec_lo
	s_or_b32 s37, s37, s6
.LBB1_96:                               ;   in Loop: Header=BB1_6 Depth=1
	s_or_b32 exec_lo, exec_lo, s55
	s_and_saveexec_b32 s6, s37
	s_cbranch_execz .LBB1_98
; %bb.97:                               ;   in Loop: Header=BB1_6 Depth=1
	s_waitcnt lgkmcnt(0)
	v_mov_b32_e32 v5, v4
	v_mov_b32_e32 v1, v3
	ds_write_b32 v13, v3
	ds_write_b32 v12, v4
.LBB1_98:                               ;   in Loop: Header=BB1_6 Depth=1
	s_or_b32 exec_lo, exec_lo, s6
.LBB1_99:                               ;   in Loop: Header=BB1_6 Depth=1
	s_or_b32 exec_lo, exec_lo, s7
	s_waitcnt lgkmcnt(0)
	s_barrier
	buffer_gl0_inv
	s_and_saveexec_b32 s37, s3
	s_cbranch_execz .LBB1_122
; %bb.100:                              ;   in Loop: Header=BB1_6 Depth=1
	ds_read_b32 v3, v13 offset:128
	ds_read_b32 v4, v12 offset:128
	s_mov_b32 s55, exec_lo
	s_waitcnt lgkmcnt(1)
	v_cmp_lt_f32_e64 s7, v1, v3
	v_cmpx_nlt_f32_e32 v1, v3
	s_cbranch_execz .LBB1_102
; %bb.101:                              ;   in Loop: Header=BB1_6 Depth=1
	v_cmp_eq_f32_e32 vcc_lo, v1, v3
	s_waitcnt lgkmcnt(0)
	v_cmp_gt_i32_e64 s6, v5, v4
	s_andn2_b32 s7, s7, exec_lo
	s_and_b32 s6, vcc_lo, s6
	s_and_b32 s6, s6, exec_lo
	s_or_b32 s7, s7, s6
.LBB1_102:                              ;   in Loop: Header=BB1_6 Depth=1
	s_or_b32 exec_lo, exec_lo, s55
	s_and_saveexec_b32 s6, s7
	s_cbranch_execz .LBB1_104
; %bb.103:                              ;   in Loop: Header=BB1_6 Depth=1
	v_mov_b32_e32 v1, v3
	s_waitcnt lgkmcnt(0)
	v_mov_b32_e32 v5, v4
	ds_write_b32 v13, v3
	ds_write_b32 v12, v4
.LBB1_104:                              ;   in Loop: Header=BB1_6 Depth=1
	s_or_b32 exec_lo, exec_lo, s6
	ds_read_b32 v3, v13 offset:64
	s_waitcnt lgkmcnt(1)
	ds_read_b32 v4, v12 offset:64
	s_mov_b32 s55, exec_lo
	s_waitcnt lgkmcnt(1)
	v_cmp_lt_f32_e64 s7, v1, v3
	v_cmpx_nlt_f32_e32 v1, v3
	s_cbranch_execz .LBB1_106
; %bb.105:                              ;   in Loop: Header=BB1_6 Depth=1
	v_cmp_eq_f32_e32 vcc_lo, v1, v3
	s_waitcnt lgkmcnt(0)
	v_cmp_gt_i32_e64 s6, v5, v4
	s_andn2_b32 s7, s7, exec_lo
	s_and_b32 s6, vcc_lo, s6
	s_and_b32 s6, s6, exec_lo
	s_or_b32 s7, s7, s6
.LBB1_106:                              ;   in Loop: Header=BB1_6 Depth=1
	s_or_b32 exec_lo, exec_lo, s55
	s_and_saveexec_b32 s6, s7
	s_cbranch_execz .LBB1_108
; %bb.107:                              ;   in Loop: Header=BB1_6 Depth=1
	v_mov_b32_e32 v1, v3
	s_waitcnt lgkmcnt(0)
	v_mov_b32_e32 v5, v4
	ds_write_b32 v13, v3
	ds_write_b32 v12, v4
.LBB1_108:                              ;   in Loop: Header=BB1_6 Depth=1
	s_or_b32 exec_lo, exec_lo, s6
	ds_read_b32 v3, v13 offset:32
	s_waitcnt lgkmcnt(1)
	ds_read_b32 v4, v12 offset:32
	s_mov_b32 s55, exec_lo
	s_waitcnt lgkmcnt(1)
	v_cmp_lt_f32_e64 s7, v1, v3
	v_cmpx_nlt_f32_e32 v1, v3
	s_cbranch_execz .LBB1_110
; %bb.109:                              ;   in Loop: Header=BB1_6 Depth=1
	v_cmp_eq_f32_e32 vcc_lo, v1, v3
	s_waitcnt lgkmcnt(0)
	v_cmp_gt_i32_e64 s6, v5, v4
	s_andn2_b32 s7, s7, exec_lo
	s_and_b32 s6, vcc_lo, s6
	s_and_b32 s6, s6, exec_lo
	s_or_b32 s7, s7, s6
.LBB1_110:                              ;   in Loop: Header=BB1_6 Depth=1
	s_or_b32 exec_lo, exec_lo, s55
	s_and_saveexec_b32 s6, s7
	s_cbranch_execz .LBB1_112
; %bb.111:                              ;   in Loop: Header=BB1_6 Depth=1
	v_mov_b32_e32 v1, v3
	s_waitcnt lgkmcnt(0)
	v_mov_b32_e32 v5, v4
	ds_write_b32 v13, v3
	ds_write_b32 v12, v4
.LBB1_112:                              ;   in Loop: Header=BB1_6 Depth=1
	s_or_b32 exec_lo, exec_lo, s6
	ds_read_b32 v3, v13 offset:16
	s_waitcnt lgkmcnt(1)
	ds_read_b32 v4, v12 offset:16
	s_mov_b32 s55, exec_lo
	s_waitcnt lgkmcnt(1)
	v_cmp_lt_f32_e64 s7, v1, v3
	v_cmpx_nlt_f32_e32 v1, v3
	s_cbranch_execz .LBB1_114
; %bb.113:                              ;   in Loop: Header=BB1_6 Depth=1
	v_cmp_eq_f32_e32 vcc_lo, v1, v3
	s_waitcnt lgkmcnt(0)
	v_cmp_gt_i32_e64 s6, v5, v4
	s_andn2_b32 s7, s7, exec_lo
	s_and_b32 s6, vcc_lo, s6
	s_and_b32 s6, s6, exec_lo
	s_or_b32 s7, s7, s6
.LBB1_114:                              ;   in Loop: Header=BB1_6 Depth=1
	s_or_b32 exec_lo, exec_lo, s55
	s_and_saveexec_b32 s6, s7
	s_cbranch_execz .LBB1_116
; %bb.115:                              ;   in Loop: Header=BB1_6 Depth=1
	v_mov_b32_e32 v1, v3
	s_waitcnt lgkmcnt(0)
	v_mov_b32_e32 v5, v4
	ds_write_b32 v13, v3
	ds_write_b32 v12, v4
.LBB1_116:                              ;   in Loop: Header=BB1_6 Depth=1
	s_or_b32 exec_lo, exec_lo, s6
	ds_read_b32 v3, v13 offset:8
	s_waitcnt lgkmcnt(1)
	ds_read_b32 v4, v12 offset:8
	s_mov_b32 s55, exec_lo
	s_waitcnt lgkmcnt(1)
	v_cmp_lt_f32_e64 s7, v1, v3
	v_cmpx_nlt_f32_e32 v1, v3
	s_cbranch_execz .LBB1_118
; %bb.117:                              ;   in Loop: Header=BB1_6 Depth=1
	v_cmp_eq_f32_e32 vcc_lo, v1, v3
	s_waitcnt lgkmcnt(0)
	v_cmp_gt_i32_e64 s6, v5, v4
	s_andn2_b32 s7, s7, exec_lo
	s_and_b32 s6, vcc_lo, s6
	s_and_b32 s6, s6, exec_lo
	s_or_b32 s7, s7, s6
.LBB1_118:                              ;   in Loop: Header=BB1_6 Depth=1
	s_or_b32 exec_lo, exec_lo, s55
	s_and_saveexec_b32 s6, s7
	s_cbranch_execz .LBB1_120
; %bb.119:                              ;   in Loop: Header=BB1_6 Depth=1
	v_mov_b32_e32 v1, v3
	s_waitcnt lgkmcnt(0)
	v_mov_b32_e32 v5, v4
	ds_write_b32 v13, v3
	ds_write_b32 v12, v4
.LBB1_120:                              ;   in Loop: Header=BB1_6 Depth=1
	s_or_b32 exec_lo, exec_lo, s6
	ds_read_b32 v3, v13 offset:4
	s_waitcnt lgkmcnt(1)
	ds_read_b32 v4, v12 offset:4
	s_waitcnt lgkmcnt(1)
	v_cmp_eq_f32_e32 vcc_lo, v1, v3
	s_waitcnt lgkmcnt(0)
	v_cmp_gt_i32_e64 s6, v5, v4
	v_cmp_lt_f32_e64 s7, v1, v3
	s_and_b32 s6, vcc_lo, s6
	s_or_b32 s6, s7, s6
	s_and_b32 exec_lo, exec_lo, s6
	s_cbranch_execz .LBB1_122
; %bb.121:                              ;   in Loop: Header=BB1_6 Depth=1
	ds_write_b32 v13, v3
	ds_write_b32 v12, v4
.LBB1_122:                              ;   in Loop: Header=BB1_6 Depth=1
	s_or_b32 exec_lo, exec_lo, s37
.LBB1_123:                              ;   in Loop: Header=BB1_6 Depth=1
	s_and_saveexec_b32 s6, s0
	s_cbranch_execz .LBB1_125
; %bb.124:                              ;   in Loop: Header=BB1_6 Depth=1
	ds_read_b32 v1, v2 offset:1024
	s_waitcnt lgkmcnt(0)
	ds_write_b32 v2, v1 offset:2064
.LBB1_125:                              ;   in Loop: Header=BB1_6 Depth=1
	s_or_b32 exec_lo, exec_lo, s6
	ds_read_b32 v6, v2 offset:2048
	s_waitcnt lgkmcnt(0)
	v_cmp_gt_i32_e32 vcc_lo, 1, v6
	s_cbranch_vccnz .LBB1_170
; %bb.126:                              ;   in Loop: Header=BB1_6 Depth=1
	v_mov_b32_e32 v1, 0
	v_bfrev_b32_e32 v5, -2
	s_mov_b32 s7, exec_lo
	v_cmpx_lt_i32_e64 v0, v6
	s_cbranch_execz .LBB1_130
; %bb.127:                              ;   in Loop: Header=BB1_6 Depth=1
	s_lshl_b64 s[56:57], s[38:39], 2
	v_mov_b32_e32 v1, 0
	v_add_co_u32 v3, vcc_lo, v16, s56
	v_add_co_ci_u32_e64 v4, null, s57, v17, vcc_lo
	v_bfrev_b32_e32 v5, -2
	v_mov_b32_e32 v7, v0
	s_mov_b32 s37, 0
	.p2align	6
.LBB1_128:                              ;   Parent Loop BB1_6 Depth=1
                                        ; =>  This Inner Loop Header: Depth=2
	global_load_dword v8, v[3:4], off
	v_cmp_eq_u32_e32 vcc_lo, 0x7fffffff, v5
	v_add_nc_u32_e32 v9, 1, v7
	v_add_nc_u32_e32 v7, 0x100, v7
	v_add_co_u32 v3, s6, 0x400, v3
	v_add_co_ci_u32_e64 v4, null, 0, v4, s6
	v_cmp_ge_i32_e64 s6, v7, v6
	s_waitcnt vmcnt(0)
	v_cmp_lt_f32_e64 s39, v1, |v8|
	s_or_b32 vcc_lo, s39, vcc_lo
	s_or_b32 s37, s6, s37
	v_cndmask_b32_e64 v1, v1, |v8|, vcc_lo
	v_cndmask_b32_e32 v5, v5, v9, vcc_lo
	s_andn2_b32 exec_lo, exec_lo, s37
	s_cbranch_execnz .LBB1_128
; %bb.129:                              ;   in Loop: Header=BB1_6 Depth=1
	s_or_b32 exec_lo, exec_lo, s37
.LBB1_130:                              ;   in Loop: Header=BB1_6 Depth=1
	s_or_b32 exec_lo, exec_lo, s7
	v_cmp_eq_u32_e32 vcc_lo, 1, v6
	ds_write_b32 v13, v1
	ds_write_b32 v12, v5
	s_waitcnt lgkmcnt(0)
	s_barrier
	buffer_gl0_inv
	s_cbranch_vccnz .LBB1_167
; %bb.131:                              ;   in Loop: Header=BB1_6 Depth=1
	s_and_saveexec_b32 s7, s1
	s_cbranch_execz .LBB1_137
; %bb.132:                              ;   in Loop: Header=BB1_6 Depth=1
	ds_read_b32 v3, v13 offset:512
	ds_read_b32 v4, v12 offset:512
	s_mov_b32 s39, exec_lo
	s_waitcnt lgkmcnt(1)
	v_cmp_lt_f32_e64 s37, v1, v3
	v_cmpx_nlt_f32_e32 v1, v3
	s_cbranch_execz .LBB1_134
; %bb.133:                              ;   in Loop: Header=BB1_6 Depth=1
	v_cmp_eq_f32_e32 vcc_lo, v1, v3
	s_waitcnt lgkmcnt(0)
	v_cmp_gt_i32_e64 s6, v5, v4
	s_andn2_b32 s37, s37, exec_lo
	s_and_b32 s6, vcc_lo, s6
	s_and_b32 s6, s6, exec_lo
	s_or_b32 s37, s37, s6
.LBB1_134:                              ;   in Loop: Header=BB1_6 Depth=1
	s_or_b32 exec_lo, exec_lo, s39
	s_and_saveexec_b32 s6, s37
	s_cbranch_execz .LBB1_136
; %bb.135:                              ;   in Loop: Header=BB1_6 Depth=1
	s_waitcnt lgkmcnt(0)
	v_mov_b32_e32 v5, v4
	v_mov_b32_e32 v1, v3
	ds_write_b32 v13, v3
	ds_write_b32 v12, v4
.LBB1_136:                              ;   in Loop: Header=BB1_6 Depth=1
	s_or_b32 exec_lo, exec_lo, s6
.LBB1_137:                              ;   in Loop: Header=BB1_6 Depth=1
	s_or_b32 exec_lo, exec_lo, s7
	s_waitcnt lgkmcnt(0)
	s_barrier
	buffer_gl0_inv
	s_and_saveexec_b32 s7, s2
	s_cbranch_execz .LBB1_143
; %bb.138:                              ;   in Loop: Header=BB1_6 Depth=1
	ds_read_b32 v3, v13 offset:256
	ds_read_b32 v4, v12 offset:256
	s_mov_b32 s39, exec_lo
	s_waitcnt lgkmcnt(1)
	v_cmp_lt_f32_e64 s37, v1, v3
	v_cmpx_nlt_f32_e32 v1, v3
	s_cbranch_execz .LBB1_140
; %bb.139:                              ;   in Loop: Header=BB1_6 Depth=1
	v_cmp_eq_f32_e32 vcc_lo, v1, v3
	s_waitcnt lgkmcnt(0)
	v_cmp_gt_i32_e64 s6, v5, v4
	s_andn2_b32 s37, s37, exec_lo
	s_and_b32 s6, vcc_lo, s6
	s_and_b32 s6, s6, exec_lo
	s_or_b32 s37, s37, s6
.LBB1_140:                              ;   in Loop: Header=BB1_6 Depth=1
	s_or_b32 exec_lo, exec_lo, s39
	s_and_saveexec_b32 s6, s37
	s_cbranch_execz .LBB1_142
; %bb.141:                              ;   in Loop: Header=BB1_6 Depth=1
	s_waitcnt lgkmcnt(0)
	v_mov_b32_e32 v5, v4
	v_mov_b32_e32 v1, v3
	ds_write_b32 v13, v3
	ds_write_b32 v12, v4
.LBB1_142:                              ;   in Loop: Header=BB1_6 Depth=1
	s_or_b32 exec_lo, exec_lo, s6
.LBB1_143:                              ;   in Loop: Header=BB1_6 Depth=1
	s_or_b32 exec_lo, exec_lo, s7
	s_waitcnt lgkmcnt(0)
	s_barrier
	buffer_gl0_inv
	s_and_saveexec_b32 s37, s3
	s_cbranch_execz .LBB1_166
; %bb.144:                              ;   in Loop: Header=BB1_6 Depth=1
	ds_read_b32 v3, v13 offset:128
	ds_read_b32 v4, v12 offset:128
	s_mov_b32 s39, exec_lo
	s_waitcnt lgkmcnt(1)
	v_cmp_lt_f32_e64 s7, v1, v3
	v_cmpx_nlt_f32_e32 v1, v3
	s_cbranch_execz .LBB1_146
; %bb.145:                              ;   in Loop: Header=BB1_6 Depth=1
	v_cmp_eq_f32_e32 vcc_lo, v1, v3
	s_waitcnt lgkmcnt(0)
	v_cmp_gt_i32_e64 s6, v5, v4
	s_andn2_b32 s7, s7, exec_lo
	s_and_b32 s6, vcc_lo, s6
	s_and_b32 s6, s6, exec_lo
	s_or_b32 s7, s7, s6
.LBB1_146:                              ;   in Loop: Header=BB1_6 Depth=1
	s_or_b32 exec_lo, exec_lo, s39
	s_and_saveexec_b32 s6, s7
	s_cbranch_execz .LBB1_148
; %bb.147:                              ;   in Loop: Header=BB1_6 Depth=1
	v_mov_b32_e32 v1, v3
	s_waitcnt lgkmcnt(0)
	v_mov_b32_e32 v5, v4
	ds_write_b32 v13, v3
	ds_write_b32 v12, v4
.LBB1_148:                              ;   in Loop: Header=BB1_6 Depth=1
	s_or_b32 exec_lo, exec_lo, s6
	ds_read_b32 v3, v13 offset:64
	s_waitcnt lgkmcnt(1)
	ds_read_b32 v4, v12 offset:64
	s_mov_b32 s39, exec_lo
	s_waitcnt lgkmcnt(1)
	v_cmp_lt_f32_e64 s7, v1, v3
	v_cmpx_nlt_f32_e32 v1, v3
	s_cbranch_execz .LBB1_150
; %bb.149:                              ;   in Loop: Header=BB1_6 Depth=1
	v_cmp_eq_f32_e32 vcc_lo, v1, v3
	s_waitcnt lgkmcnt(0)
	v_cmp_gt_i32_e64 s6, v5, v4
	s_andn2_b32 s7, s7, exec_lo
	s_and_b32 s6, vcc_lo, s6
	s_and_b32 s6, s6, exec_lo
	s_or_b32 s7, s7, s6
.LBB1_150:                              ;   in Loop: Header=BB1_6 Depth=1
	s_or_b32 exec_lo, exec_lo, s39
	s_and_saveexec_b32 s6, s7
	s_cbranch_execz .LBB1_152
; %bb.151:                              ;   in Loop: Header=BB1_6 Depth=1
	v_mov_b32_e32 v1, v3
	s_waitcnt lgkmcnt(0)
	v_mov_b32_e32 v5, v4
	ds_write_b32 v13, v3
	ds_write_b32 v12, v4
.LBB1_152:                              ;   in Loop: Header=BB1_6 Depth=1
	s_or_b32 exec_lo, exec_lo, s6
	ds_read_b32 v3, v13 offset:32
	s_waitcnt lgkmcnt(1)
	ds_read_b32 v4, v12 offset:32
	s_mov_b32 s39, exec_lo
	s_waitcnt lgkmcnt(1)
	v_cmp_lt_f32_e64 s7, v1, v3
	v_cmpx_nlt_f32_e32 v1, v3
	s_cbranch_execz .LBB1_154
; %bb.153:                              ;   in Loop: Header=BB1_6 Depth=1
	v_cmp_eq_f32_e32 vcc_lo, v1, v3
	s_waitcnt lgkmcnt(0)
	v_cmp_gt_i32_e64 s6, v5, v4
	s_andn2_b32 s7, s7, exec_lo
	s_and_b32 s6, vcc_lo, s6
	s_and_b32 s6, s6, exec_lo
	s_or_b32 s7, s7, s6
.LBB1_154:                              ;   in Loop: Header=BB1_6 Depth=1
	s_or_b32 exec_lo, exec_lo, s39
	s_and_saveexec_b32 s6, s7
	s_cbranch_execz .LBB1_156
; %bb.155:                              ;   in Loop: Header=BB1_6 Depth=1
	v_mov_b32_e32 v1, v3
	s_waitcnt lgkmcnt(0)
	v_mov_b32_e32 v5, v4
	ds_write_b32 v13, v3
	ds_write_b32 v12, v4
.LBB1_156:                              ;   in Loop: Header=BB1_6 Depth=1
	s_or_b32 exec_lo, exec_lo, s6
	ds_read_b32 v3, v13 offset:16
	s_waitcnt lgkmcnt(1)
	ds_read_b32 v4, v12 offset:16
	s_mov_b32 s39, exec_lo
	s_waitcnt lgkmcnt(1)
	v_cmp_lt_f32_e64 s7, v1, v3
	v_cmpx_nlt_f32_e32 v1, v3
	s_cbranch_execz .LBB1_158
; %bb.157:                              ;   in Loop: Header=BB1_6 Depth=1
	v_cmp_eq_f32_e32 vcc_lo, v1, v3
	s_waitcnt lgkmcnt(0)
	v_cmp_gt_i32_e64 s6, v5, v4
	s_andn2_b32 s7, s7, exec_lo
	s_and_b32 s6, vcc_lo, s6
	s_and_b32 s6, s6, exec_lo
	s_or_b32 s7, s7, s6
.LBB1_158:                              ;   in Loop: Header=BB1_6 Depth=1
	s_or_b32 exec_lo, exec_lo, s39
	s_and_saveexec_b32 s6, s7
	s_cbranch_execz .LBB1_160
; %bb.159:                              ;   in Loop: Header=BB1_6 Depth=1
	v_mov_b32_e32 v1, v3
	s_waitcnt lgkmcnt(0)
	v_mov_b32_e32 v5, v4
	ds_write_b32 v13, v3
	ds_write_b32 v12, v4
.LBB1_160:                              ;   in Loop: Header=BB1_6 Depth=1
	s_or_b32 exec_lo, exec_lo, s6
	ds_read_b32 v3, v13 offset:8
	s_waitcnt lgkmcnt(1)
	ds_read_b32 v4, v12 offset:8
	s_mov_b32 s39, exec_lo
	s_waitcnt lgkmcnt(1)
	v_cmp_lt_f32_e64 s7, v1, v3
	v_cmpx_nlt_f32_e32 v1, v3
	s_cbranch_execz .LBB1_162
; %bb.161:                              ;   in Loop: Header=BB1_6 Depth=1
	v_cmp_eq_f32_e32 vcc_lo, v1, v3
	s_waitcnt lgkmcnt(0)
	v_cmp_gt_i32_e64 s6, v5, v4
	s_andn2_b32 s7, s7, exec_lo
	s_and_b32 s6, vcc_lo, s6
	s_and_b32 s6, s6, exec_lo
	s_or_b32 s7, s7, s6
.LBB1_162:                              ;   in Loop: Header=BB1_6 Depth=1
	s_or_b32 exec_lo, exec_lo, s39
	s_and_saveexec_b32 s6, s7
	s_cbranch_execz .LBB1_164
; %bb.163:                              ;   in Loop: Header=BB1_6 Depth=1
	v_mov_b32_e32 v1, v3
	s_waitcnt lgkmcnt(0)
	v_mov_b32_e32 v5, v4
	ds_write_b32 v13, v3
	ds_write_b32 v12, v4
.LBB1_164:                              ;   in Loop: Header=BB1_6 Depth=1
	s_or_b32 exec_lo, exec_lo, s6
	ds_read_b32 v3, v13 offset:4
	s_waitcnt lgkmcnt(1)
	ds_read_b32 v4, v12 offset:4
	s_waitcnt lgkmcnt(1)
	v_cmp_eq_f32_e32 vcc_lo, v1, v3
	s_waitcnt lgkmcnt(0)
	v_cmp_gt_i32_e64 s6, v5, v4
	v_cmp_lt_f32_e64 s7, v1, v3
	s_and_b32 s6, vcc_lo, s6
	s_or_b32 s6, s7, s6
	s_and_b32 exec_lo, exec_lo, s6
	s_cbranch_execz .LBB1_166
; %bb.165:                              ;   in Loop: Header=BB1_6 Depth=1
	ds_write_b32 v13, v3
	ds_write_b32 v12, v4
.LBB1_166:                              ;   in Loop: Header=BB1_6 Depth=1
	s_or_b32 exec_lo, exec_lo, s37
.LBB1_167:                              ;   in Loop: Header=BB1_6 Depth=1
	s_and_saveexec_b32 s6, s0
	s_cbranch_execz .LBB1_169
; %bb.168:                              ;   in Loop: Header=BB1_6 Depth=1
	ds_read_b32 v1, v2 offset:2064
	ds_read_b32 v3, v2 offset:1024
	s_waitcnt lgkmcnt(0)
	v_cmp_lt_f32_e32 vcc_lo, v1, v3
	v_cndmask_b32_e32 v1, v1, v3, vcc_lo
	ds_write_b32 v2, v1 offset:2064
.LBB1_169:                              ;   in Loop: Header=BB1_6 Depth=1
	s_or_b32 exec_lo, exec_lo, s6
.LBB1_170:                              ;   in Loop: Header=BB1_6 Depth=1
	s_waitcnt lgkmcnt(0)
	s_barrier
	buffer_gl0_inv
	ds_read_b64 v[3:4], v2 offset:2056
	ds_read_b32 v1, v2 offset:2064
	s_waitcnt lgkmcnt(0)
	v_div_scale_f32 v5, null, v1, v1, v4
	v_rcp_f32_e32 v6, v5
	v_fma_f32 v7, -v5, v6, 1.0
	v_fmac_f32_e32 v6, v7, v6
	v_div_scale_f32 v7, vcc_lo, v4, v1, v4
	v_mul_f32_e32 v8, v7, v6
	v_fma_f32 v9, -v5, v8, v7
	v_fmac_f32_e32 v8, v9, v6
	v_fma_f32 v5, -v5, v8, v7
	v_div_fmas_f32 v5, v5, v6, v8
	v_mul_f32_e32 v6, 0x3f23f07b, v4
	v_div_fixup_f32 v4, v5, v1, v4
	v_mul_f32_e32 v4, v6, v4
	v_cmp_ge_f32_e32 vcc_lo, v3, v4
	s_cbranch_vccnz .LBB1_176
; %bb.171:                              ;   in Loop: Header=BB1_6 Depth=1
	ds_read_b32 v3, v2 offset:2048
	v_mul_f32_e32 v1, 0x3f23f07b, v1
	s_waitcnt lgkmcnt(0)
	v_readfirstlane_b32 s6, v3
	s_add_i32 s6, s6, s38
	s_ashr_i32 s7, s6, 31
	s_lshl_b64 s[6:7], s[6:7], 2
	s_add_u32 s6, s44, s6
	s_addc_u32 s7, s45, s7
	global_load_dword v4, v2, s[6:7]
	v_readfirstlane_b32 s6, v3
	s_waitcnt vmcnt(0)
	v_cmp_nge_f32_e64 s7, |v4|, v1
	s_and_b32 vcc_lo, exec_lo, s7
	s_cbranch_vccnz .LBB1_217
; %bb.172:                              ;   in Loop: Header=BB1_6 Depth=1
	s_and_saveexec_b32 s7, s5
	s_cbranch_execz .LBB1_175
; %bb.173:                              ;   in Loop: Header=BB1_6 Depth=1
	v_add_nc_u32_e32 v3, s36, v0
	v_add_nc_u32_e32 v5, s38, v0
	v_mov_b32_e32 v1, v0
	s_mov_b32 s37, 0
	v_ashrrev_i32_e32 v4, 31, v3
	v_ashrrev_i32_e32 v6, 31, v5
	v_lshlrev_b64 v[3:4], 2, v[3:4]
	v_lshlrev_b64 v[5:6], 2, v[5:6]
	v_add_co_u32 v3, vcc_lo, s44, v3
	v_add_co_ci_u32_e64 v4, null, s45, v4, vcc_lo
	v_add_co_u32 v5, vcc_lo, s44, v5
	v_add_co_ci_u32_e64 v6, null, s45, v6, vcc_lo
	.p2align	6
.LBB1_174:                              ;   Parent Loop BB1_6 Depth=1
                                        ; =>  This Inner Loop Header: Depth=2
	global_load_dword v7, v[5:6], off
	v_add_nc_u32_e32 v1, 0x100, v1
	v_add_co_u32 v5, vcc_lo, 0x400, v5
	v_add_co_ci_u32_e64 v6, null, 0, v6, vcc_lo
	v_cmp_lt_i32_e32 vcc_lo, s10, v1
	s_or_b32 s37, vcc_lo, s37
	s_waitcnt vmcnt(0)
	global_store_dword v[3:4], v7, off
	v_add_co_u32 v3, s5, 0x400, v3
	v_add_co_ci_u32_e64 v4, null, 0, v4, s5
	s_andn2_b32 exec_lo, exec_lo, s37
	s_cbranch_execnz .LBB1_174
.LBB1_175:                              ;   in Loop: Header=BB1_6 Depth=1
	s_or_b32 exec_lo, exec_lo, s7
	s_mov_b32 s7, -1
	s_mov_b32 s38, -1
	s_waitcnt_vscnt null, 0x0
	s_barrier
	buffer_gl0_inv
	s_add_i32 s37, s38, s10
	s_add_i32 s39, s37, 1
	s_cmp_eq_u32 s6, s39
	s_cbranch_scc0 .LBB1_177
	s_branch .LBB1_192
.LBB1_176:                              ;   in Loop: Header=BB1_6 Depth=1
	s_mov_b32 s7, -1
	s_mov_b32 s38, -1
	s_mov_b32 s6, s10
	s_add_i32 s37, s38, s10
	s_add_i32 s39, s37, 1
	s_cmp_eq_u32 s6, s39
	s_cbranch_scc1 .LBB1_192
.LBB1_177:                              ;   in Loop: Header=BB1_6 Depth=1
	s_and_saveexec_b32 s5, s0
	s_cbranch_execz .LBB1_179
; %bb.178:                              ;   in Loop: Header=BB1_6 Depth=1
	s_mul_i32 s56, s39, s47
	s_ashr_i32 s57, s56, 31
	s_lshl_b64 s[56:57], s[56:57], 2
	s_add_u32 s56, s20, s56
	s_addc_u32 s57, s33, s57
	global_load_dword v1, v2, s[56:57]
	s_mul_i32 s56, s6, s47
	s_ashr_i32 s57, s56, 31
	s_lshl_b64 s[56:57], s[56:57], 2
	s_add_u32 s56, s20, s56
	s_addc_u32 s57, s33, s57
	s_waitcnt vmcnt(0)
	global_store_dword v2, v1, s[56:57]
.LBB1_179:                              ;   in Loop: Header=BB1_6 Depth=1
	s_or_b32 exec_lo, exec_lo, s5
	s_sub_i32 s55, s37, s6
	s_mov_b32 s56, exec_lo
	v_cmpx_gt_i32_e64 s55, v0
	s_cbranch_execz .LBB1_182
; %bb.180:                              ;   in Loop: Header=BB1_6 Depth=1
	v_add_nc_u32_e32 v1, s6, v11
	s_mul_i32 s5, s39, s21
	s_mov_b32 s58, 0
	s_add_i32 s57, s6, s5
	s_add_i32 s57, s57, 1
	v_mad_u64_u32 v[3:4], null, s21, v1, s[6:7]
	v_mov_b32_e32 v1, v0
	.p2align	6
.LBB1_181:                              ;   Parent Loop BB1_6 Depth=1
                                        ; =>  This Inner Loop Header: Depth=2
	v_add_nc_u32_e32 v4, s57, v1
	v_add_nc_u32_e32 v1, 0x100, v1
	v_ashrrev_i32_e32 v5, 31, v4
	v_lshlrev_b64 v[4:5], 2, v[4:5]
	v_add_co_u32 v4, vcc_lo, s20, v4
	v_add_co_ci_u32_e64 v5, null, s33, v5, vcc_lo
	v_cmp_le_i32_e32 vcc_lo, s55, v1
	global_load_dword v6, v[4:5], off
	v_ashrrev_i32_e32 v4, 31, v3
	s_or_b32 s58, vcc_lo, s58
	v_lshlrev_b64 v[4:5], 2, v[3:4]
	v_add_nc_u32_e32 v3, s51, v3
	v_add_co_u32 v4, s5, s20, v4
	v_add_co_ci_u32_e64 v5, null, s33, v5, s5
	s_waitcnt vmcnt(0)
	global_store_dword v[4:5], v6, off
	s_andn2_b32 exec_lo, exec_lo, s58
	s_cbranch_execnz .LBB1_181
.LBB1_182:                              ;   in Loop: Header=BB1_6 Depth=1
	s_or_b32 exec_lo, exec_lo, s56
	s_mov_b32 s55, exec_lo
	v_cmpx_gt_i32_e64 s6, v0
	s_cbranch_execz .LBB1_185
; %bb.183:                              ;   in Loop: Header=BB1_6 Depth=1
	v_mad_u64_u32 v[3:4], null, s6, s21, v[0:1]
	v_mad_u64_u32 v[5:6], null, s39, s21, v[0:1]
	v_mov_b32_e32 v1, v0
	s_mov_b32 s56, 0
	v_ashrrev_i32_e32 v4, 31, v3
	v_ashrrev_i32_e32 v6, 31, v5
	v_lshlrev_b64 v[3:4], 2, v[3:4]
	v_lshlrev_b64 v[5:6], 2, v[5:6]
	v_add_co_u32 v3, vcc_lo, s49, v3
	v_add_co_ci_u32_e64 v4, null, s50, v4, vcc_lo
	v_add_co_u32 v5, vcc_lo, s49, v5
	v_add_co_ci_u32_e64 v6, null, s50, v6, vcc_lo
	.p2align	6
.LBB1_184:                              ;   Parent Loop BB1_6 Depth=1
                                        ; =>  This Inner Loop Header: Depth=2
	global_load_dword v7, v[5:6], off
	v_add_nc_u32_e32 v1, 0x100, v1
	v_add_co_u32 v5, vcc_lo, 0x400, v5
	v_add_co_ci_u32_e64 v6, null, 0, v6, vcc_lo
	v_cmp_le_i32_e32 vcc_lo, s6, v1
	s_or_b32 s56, vcc_lo, s56
	s_waitcnt vmcnt(0)
	global_store_dword v[3:4], v7, off
	v_add_co_u32 v3, s5, 0x400, v3
	v_add_co_ci_u32_e64 v4, null, 0, v4, s5
	s_andn2_b32 exec_lo, exec_lo, s56
	s_cbranch_execnz .LBB1_184
.LBB1_185:                              ;   in Loop: Header=BB1_6 Depth=1
	s_or_b32 exec_lo, exec_lo, s55
	s_not_b32 s5, s10
	s_mov_b32 s55, exec_lo
	s_add_i32 s5, s22, s5
	s_waitcnt_vscnt null, 0x0
	s_barrier
	buffer_gl0_inv
	v_cmpx_gt_i32_e64 s5, v0
	s_cbranch_execz .LBB1_188
; %bb.186:                              ;   in Loop: Header=BB1_6 Depth=1
	v_add_nc_u32_e32 v1, s10, v11
	v_mov_b32_e32 v3, v0
	s_ashr_i32 s56, s37, 31
	s_mov_b32 s57, 0
	v_mul_lo_u32 v1, s21, v1
	s_inst_prefetch 0x1
	.p2align	6
.LBB1_187:                              ;   Parent Loop BB1_6 Depth=1
                                        ; =>  This Inner Loop Header: Depth=2
	v_add_nc_u32_e32 v4, s6, v1
	v_ashrrev_i32_e32 v7, 31, v1
	v_add_co_u32 v6, vcc_lo, v1, s37
	v_add_nc_u32_e32 v3, 0x100, v3
	v_ashrrev_i32_e32 v5, 31, v4
	v_add_co_ci_u32_e64 v7, null, s56, v7, vcc_lo
	v_add_nc_u32_e32 v1, s51, v1
	v_lshlrev_b64 v[4:5], 2, v[4:5]
	v_lshlrev_b64 v[6:7], 2, v[6:7]
	v_add_co_u32 v4, vcc_lo, s20, v4
	v_add_co_ci_u32_e64 v5, null, s33, v5, vcc_lo
	v_add_co_u32 v6, vcc_lo, s20, v6
	v_add_co_ci_u32_e64 v7, null, s33, v7, vcc_lo
	s_clause 0x1
	global_load_dword v8, v[4:5], off
	global_load_dword v9, v[6:7], off offset:4
	v_cmp_le_i32_e32 vcc_lo, s5, v3
	s_waitcnt vmcnt(1)
	global_store_dword v[6:7], v8, off offset:4
	s_waitcnt vmcnt(0)
	global_store_dword v[4:5], v9, off
	s_or_b32 s57, vcc_lo, s57
	s_andn2_b32 exec_lo, exec_lo, s57
	s_cbranch_execnz .LBB1_187
.LBB1_188:                              ;   in Loop: Header=BB1_6 Depth=1
	s_inst_prefetch 0x2
	s_or_b32 exec_lo, exec_lo, s55
	s_sub_i32 s5, s22, s39
	s_mov_b32 s39, exec_lo
	v_cmpx_gt_i32_e64 s5, v0
	s_cbranch_execz .LBB1_191
; %bb.189:                              ;   in Loop: Header=BB1_6 Depth=1
	v_add3_u32 v1, s10, s38, v20
	v_mov_b32_e32 v3, v0
	s_ashr_i32 s38, s37, 31
	s_mov_b32 s55, 0
	v_mul_lo_u32 v1, s22, v1
	s_inst_prefetch 0x1
	.p2align	6
.LBB1_190:                              ;   Parent Loop BB1_6 Depth=1
                                        ; =>  This Inner Loop Header: Depth=2
	v_add_nc_u32_e32 v4, s6, v1
	v_ashrrev_i32_e32 v7, 31, v1
	v_add_co_u32 v6, vcc_lo, v1, s37
	v_add_nc_u32_e32 v3, 0x100, v3
	v_ashrrev_i32_e32 v5, 31, v4
	v_add_co_ci_u32_e64 v7, null, s38, v7, vcc_lo
	v_add_nc_u32_e32 v1, s52, v1
	v_lshlrev_b64 v[4:5], 2, v[4:5]
	v_lshlrev_b64 v[6:7], 2, v[6:7]
	v_add_co_u32 v4, vcc_lo, s44, v4
	v_add_co_ci_u32_e64 v5, null, s45, v5, vcc_lo
	v_add_co_u32 v6, vcc_lo, s44, v6
	v_add_co_ci_u32_e64 v7, null, s45, v7, vcc_lo
	s_clause 0x1
	global_load_dword v8, v[4:5], off
	global_load_dword v9, v[6:7], off offset:4
	v_cmp_le_i32_e32 vcc_lo, s5, v3
	s_waitcnt vmcnt(1)
	global_store_dword v[6:7], v8, off offset:4
	s_waitcnt vmcnt(0)
	global_store_dword v[4:5], v9, off
	s_or_b32 s55, vcc_lo, s55
	s_andn2_b32 exec_lo, exec_lo, s55
	s_cbranch_execnz .LBB1_190
.LBB1_191:                              ;   in Loop: Header=BB1_6 Depth=1
	s_inst_prefetch 0x2
	s_or_b32 exec_lo, exec_lo, s39
	s_waitcnt_vscnt null, 0x0
	s_barrier
	buffer_gl0_inv
.LBB1_192:                              ;   in Loop: Header=BB1_6 Depth=1
	s_xor_b32 s5, s7, -1
	s_mov_b32 s37, -1
	s_and_b32 vcc_lo, exec_lo, s5
	s_cbranch_vccz .LBB1_201
; %bb.193:                              ;   in Loop: Header=BB1_6 Depth=1
	s_cmp_lt_i32 s10, 2
	s_cbranch_scc1 .LBB1_198
; %bb.194:                              ;   in Loop: Header=BB1_6 Depth=1
	s_add_i32 s7, s10, -2
	s_mov_b32 s37, exec_lo
	v_cmpx_ge_i32_e64 s7, v0
	s_cbranch_execz .LBB1_197
; %bb.195:                              ;   in Loop: Header=BB1_6 Depth=1
	s_add_i32 s55, s10, -1
	s_ashr_i32 s5, s36, 31
	s_ashr_i32 s59, s10, 31
	s_add_u32 s38, s36, s10
	s_addc_u32 s39, s5, s59
	s_lshl_b64 s[38:39], s[38:39], 2
	s_add_u32 s38, s44, s38
	s_addc_u32 s39, s45, s39
	s_add_i32 s56, s36, s10
	s_ashr_i32 s57, s56, 31
	s_lshl_b64 s[56:57], s[56:57], 2
	s_add_u32 s56, s44, s56
	s_addc_u32 s57, s45, s57
	s_add_i32 s5, s54, -1
	s_mul_i32 s60, s5, s22
	s_ashr_i32 s5, s60, 31
	s_add_u32 s58, s60, s10
	s_addc_u32 s59, s5, s59
	s_lshl_b64 s[58:59], s[58:59], 2
	s_add_u32 s58, s44, s58
	s_addc_u32 s59, s45, s59
	s_clause 0x2
	global_load_dword v3, v2, s[38:39] offset:-4
	global_load_dword v1, v2, s[56:57]
	global_load_dword v4, v2, s[58:59] offset:-4
	s_mov_b32 s38, 0
	s_waitcnt vmcnt(1)
	v_div_scale_f32 v5, null, v3, v3, v1
	s_waitcnt vmcnt(0)
	v_div_scale_f32 v6, null, v3, v3, v4
	v_div_scale_f32 v21, vcc_lo, v1, v3, v1
	v_rcp_f32_e32 v7, v5
	v_rcp_f32_e32 v8, v6
	v_fma_f32 v9, -v5, v7, 1.0
	v_fma_f32 v10, -v6, v8, 1.0
	v_fmac_f32_e32 v7, v9, v7
	v_div_scale_f32 v9, s5, v4, v3, v4
	v_fmac_f32_e32 v8, v10, v8
	v_mul_f32_e32 v10, v21, v7
	v_mul_f32_e32 v22, v9, v8
	v_fma_f32 v23, -v5, v10, v21
	v_fma_f32 v24, -v6, v22, v9
	v_fmac_f32_e32 v10, v23, v7
	v_fmac_f32_e32 v22, v24, v8
	v_add_nc_u32_e32 v24, s60, v0
	v_fma_f32 v5, -v5, v10, v21
	v_fma_f32 v6, -v6, v22, v9
	v_ashrrev_i32_e32 v25, 31, v24
	v_div_fmas_f32 v5, v5, v7, v10
	s_mov_b32 vcc_lo, s5
	v_add_nc_u32_e32 v7, s36, v0
	v_div_fmas_f32 v6, v6, v8, v22
	v_div_fixup_f32 v1, v5, v3, v1
	v_ashrrev_i32_e32 v8, 31, v7
	v_div_fixup_f32 v21, v6, v3, v4
	v_mad_u64_u32 v[5:6], null, s55, s21, v[0:1]
	v_lshlrev_b64 v[7:8], 2, v[7:8]
	v_fma_f32 v4, v1, v21, -1.0
	v_mul_f32_e32 v26, v3, v4
	v_mad_u64_u32 v[3:4], null, s10, s21, v[0:1]
	v_ashrrev_i32_e32 v6, 31, v5
	v_div_scale_f32 v27, null, v26, v26, 1.0
	v_div_scale_f32 v29, vcc_lo, 1.0, v26, 1.0
	v_lshlrev_b64 v[22:23], 2, v[5:6]
	v_rcp_f32_e32 v28, v27
	v_fma_f32 v4, -v27, v28, 1.0
	v_fmac_f32_e32 v28, v4, v28
	v_ashrrev_i32_e32 v4, 31, v3
	v_mul_f32_e32 v30, v29, v28
	v_lshlrev_b64 v[9:10], 2, v[3:4]
	v_add_co_u32 v3, s5, s44, v7
	v_add_co_ci_u32_e64 v4, null, s45, v8, s5
	v_fma_f32 v5, -v27, v30, v29
	v_fmac_f32_e32 v30, v5, v28
	v_add_co_u32 v5, s5, s49, v9
	v_add_co_ci_u32_e64 v6, null, s50, v10, s5
	v_lshlrev_b64 v[9:10], 2, v[24:25]
	v_fma_f32 v24, -v27, v30, v29
	v_add_co_u32 v7, s5, s49, v22
	v_add_co_ci_u32_e64 v8, null, s50, v23, s5
	v_div_fmas_f32 v22, v24, v28, v30
	v_add_co_u32 v9, vcc_lo, s44, v9
	v_add_co_ci_u32_e64 v10, null, s45, v10, vcc_lo
	v_div_fixup_f32 v22, v22, v26, 1.0
	v_mov_b32_e32 v23, v0
	s_inst_prefetch 0x1
	.p2align	6
.LBB1_196:                              ;   Parent Loop BB1_6 Depth=1
                                        ; =>  This Inner Loop Header: Depth=2
	global_load_dword v24, v[9:10], off
	global_load_dword v25, v[3:4], off
	v_add_nc_u32_e32 v23, 0x100, v23
	v_cmp_lt_i32_e32 vcc_lo, s7, v23
	s_or_b32 s38, vcc_lo, s38
	s_waitcnt vmcnt(0)
	v_fma_f32 v24, v1, v24, -v25
	v_mul_f32_e32 v24, v22, v24
	global_store_dword v[7:8], v24, off
	global_load_dword v24, v[3:4], off
	global_load_dword v25, v[9:10], off
	v_add_co_u32 v7, s5, 0x400, v7
	v_add_co_ci_u32_e64 v8, null, 0, v8, s5
	v_add_co_u32 v3, s5, 0x400, v3
	v_add_co_ci_u32_e64 v4, null, 0, v4, s5
	;; [unrolled: 2-line block ×3, first 2 shown]
	s_waitcnt vmcnt(0)
	v_fma_f32 v24, v21, v24, -v25
	v_mul_f32_e32 v24, v22, v24
	global_store_dword v[5:6], v24, off
	v_add_co_u32 v5, s5, 0x400, v5
	v_add_co_ci_u32_e64 v6, null, 0, v6, s5
	s_andn2_b32 exec_lo, exec_lo, s38
	s_cbranch_execnz .LBB1_196
.LBB1_197:                              ;   in Loop: Header=BB1_6 Depth=1
	s_inst_prefetch 0x2
	s_or_b32 exec_lo, exec_lo, s37
.LBB1_198:                              ;   in Loop: Header=BB1_6 Depth=1
	s_and_saveexec_b32 s5, s0
	s_cbranch_execz .LBB1_200
; %bb.199:                              ;   in Loop: Header=BB1_6 Depth=1
	s_add_i32 s7, s54, -1
	s_add_i32 s37, s10, -1
	s_mul_i32 s7, s7, s22
	s_ashr_i32 s56, s10, 31
	s_ashr_i32 s39, s7, 31
	s_add_u32 s38, s7, s10
	s_addc_u32 s39, s39, s56
	s_lshl_b64 s[38:39], s[38:39], 2
	s_add_u32 s38, s44, s38
	s_addc_u32 s39, s45, s39
	global_load_dword v1, v2, s[38:39] offset:-4
	s_mul_i32 s38, s37, s47
	s_ashr_i32 s39, s38, 31
	s_lshl_b64 s[38:39], s[38:39], 2
	s_add_u32 s38, s20, s38
	s_addc_u32 s39, s33, s39
	s_ashr_i32 s7, s36, 31
	s_add_u32 s54, s36, s10
	s_addc_u32 s55, s7, s56
	s_mul_i32 s7, s10, s21
	s_lshl_b64 s[54:55], s[54:55], 2
	s_add_u32 s54, s44, s54
	s_addc_u32 s55, s45, s55
	s_ashr_i32 s37, s7, 31
	s_waitcnt vmcnt(0)
	global_store_dword v2, v1, s[38:39]
	global_load_dword v1, v2, s[54:55] offset:-4
	s_add_u32 s38, s10, s7
	s_addc_u32 s39, s56, s37
	s_lshl_b64 s[38:39], s[38:39], 2
	s_add_u32 s38, s20, s38
	s_addc_u32 s39, s33, s39
	s_add_i32 s54, s36, s10
	s_ashr_i32 s55, s54, 31
	s_lshl_b64 s[54:55], s[54:55], 2
	s_add_u32 s54, s44, s54
	s_addc_u32 s55, s45, s55
	s_waitcnt vmcnt(0)
	global_store_dword v2, v1, s[38:39] offset:-4
	global_load_dword v1, v2, s[54:55]
	s_add_i32 s38, s7, s10
	s_ashr_i32 s39, s38, 31
	s_lshl_b64 s[38:39], s[38:39], 2
	s_add_u32 s38, s20, s38
	s_addc_u32 s39, s33, s39
	s_waitcnt vmcnt(0)
	global_store_dword v2, v1, s[38:39]
.LBB1_200:                              ;   in Loop: Header=BB1_6 Depth=1
	s_or_b32 exec_lo, exec_lo, s5
	s_mov_b32 s37, 0
	s_waitcnt_vscnt null, 0x0
	s_barrier
	buffer_gl0_inv
.LBB1_201:                              ;   in Loop: Header=BB1_6 Depth=1
	s_mov_b32 s5, 0
	s_mov_b32 s7, -2
	s_and_b32 vcc_lo, exec_lo, s37
	s_mov_b32 s37, 0
	s_cbranch_vccz .LBB1_208
; %bb.202:                              ;   in Loop: Header=BB1_6 Depth=1
	s_add_i32 s38, s36, s10
	s_ashr_i32 s39, s38, 31
	s_lshl_b64 s[38:39], s[38:39], 2
	s_add_u32 s38, s44, s38
	s_addc_u32 s39, s45, s39
	global_load_dword v1, v2, s[38:39]
	s_and_saveexec_b32 s7, s0
	s_cbranch_execz .LBB1_204
; %bb.203:                              ;   in Loop: Header=BB1_6 Depth=1
	s_mul_i32 s38, s10, s47
	s_ashr_i32 s39, s38, 31
	s_lshl_b64 s[38:39], s[38:39], 2
	s_add_u32 s38, s20, s38
	s_addc_u32 s39, s33, s39
	s_waitcnt vmcnt(0)
	global_store_dword v2, v1, s[38:39]
.LBB1_204:                              ;   in Loop: Header=BB1_6 Depth=1
	s_or_b32 exec_lo, exec_lo, s7
	s_and_saveexec_b32 s7, s4
	s_cbranch_execz .LBB1_207
; %bb.205:                              ;   in Loop: Header=BB1_6 Depth=1
	s_waitcnt vmcnt(0)
	v_div_scale_f32 v9, null, v1, v1, 1.0
	v_div_scale_f32 v21, vcc_lo, 1.0, v1, 1.0
	v_add_nc_u32_e32 v5, s36, v0
	v_rcp_f32_e32 v10, v9
	s_mov_b32 s36, 0
	v_ashrrev_i32_e32 v6, 31, v5
	v_lshlrev_b64 v[5:6], 2, v[5:6]
	v_fma_f32 v3, -v9, v10, 1.0
	v_fmac_f32_e32 v10, v3, v10
	v_mad_u64_u32 v[3:4], null, s10, s21, v[0:1]
	v_mul_f32_e32 v22, v21, v10
	v_ashrrev_i32_e32 v4, 31, v3
	v_fma_f32 v7, -v9, v22, v21
	v_fmac_f32_e32 v22, v7, v10
	v_lshlrev_b64 v[7:8], 2, v[3:4]
	v_add_co_u32 v3, s4, s44, v5
	v_add_co_ci_u32_e64 v4, null, s45, v6, s4
	v_fma_f32 v9, -v9, v22, v21
	v_div_fmas_f32 v9, v9, v10, v22
	v_add_co_u32 v5, vcc_lo, s49, v7
	v_add_co_ci_u32_e64 v6, null, s50, v8, vcc_lo
	v_div_fixup_f32 v1, v9, v1, 1.0
	v_mov_b32_e32 v7, v0
	.p2align	6
.LBB1_206:                              ;   Parent Loop BB1_6 Depth=1
                                        ; =>  This Inner Loop Header: Depth=2
	global_load_dword v8, v[3:4], off
	v_add_nc_u32_e32 v7, 0x100, v7
	v_add_co_u32 v3, vcc_lo, 0x400, v3
	v_add_co_ci_u32_e64 v4, null, 0, v4, vcc_lo
	v_cmp_le_i32_e32 vcc_lo, s10, v7
	s_or_b32 s36, vcc_lo, s36
	s_waitcnt vmcnt(0)
	v_mul_f32_e32 v8, v1, v8
	global_store_dword v[5:6], v8, off
	v_add_co_u32 v5, s4, 0x400, v5
	v_add_co_ci_u32_e64 v6, null, 0, v6, s4
	s_andn2_b32 exec_lo, exec_lo, s36
	s_cbranch_execnz .LBB1_206
.LBB1_207:                              ;   in Loop: Header=BB1_6 Depth=1
	s_or_b32 exec_lo, exec_lo, s7
	s_waitcnt vmcnt(0)
	s_waitcnt_vscnt null, 0x0
	s_barrier
	s_mov_b32 s37, -1
	s_mov_b32 s7, -1
	buffer_gl0_inv
.LBB1_208:                              ;   in Loop: Header=BB1_6 Depth=1
	s_and_b32 vcc_lo, exec_lo, s5
	s_cbranch_vccz .LBB1_212
; %bb.209:                              ;   in Loop: Header=BB1_6 Depth=1
	ds_read_b32 v1, v2 offset:2052
	s_waitcnt lgkmcnt(0)
	v_readfirstlane_b32 s4, v1
	s_cmp_eq_u32 s4, 0
	s_cselect_b32 s4, -1, 0
	s_and_b32 s5, s0, s4
	s_and_saveexec_b32 s4, s5
; %bb.210:                              ;   in Loop: Header=BB1_6 Depth=1
	s_add_i32 s5, s10, 1
	v_mov_b32_e32 v1, s5
	ds_write_b32 v2, v1 offset:2052
; %bb.211:                              ;   in Loop: Header=BB1_6 Depth=1
	s_or_b32 exec_lo, exec_lo, s4
	s_mov_b32 s7, -1
	s_mov_b32 s37, -1
	s_mov_b32 s6, s10
.LBB1_212:                              ;   in Loop: Header=BB1_6 Depth=1
	s_and_saveexec_b32 s36, s0
	s_cbranch_execz .LBB1_4
; %bb.213:                              ;   in Loop: Header=BB1_6 Depth=1
	s_lshl_b64 s[4:5], s[10:11], 2
	s_xor_b32 s37, s37, -1
	s_add_u32 s4, s40, s4
	s_addc_u32 s5, s41, s5
	s_and_b32 vcc_lo, exec_lo, s37
	s_mov_b32 s37, -1
	s_cbranch_vccz .LBB1_215
; %bb.214:                              ;   in Loop: Header=BB1_6 Depth=1
	s_not_b32 s37, s6
	v_mov_b32_e32 v3, s37
	v_mov_b32_e32 v4, s37
	s_mov_b32 s37, 0
	global_store_dwordx2 v2, v[3:4], s[4:5] offset:-4
.LBB1_215:                              ;   in Loop: Header=BB1_6 Depth=1
	s_andn2_b32 vcc_lo, exec_lo, s37
	s_cbranch_vccnz .LBB1_4
; %bb.216:                              ;   in Loop: Header=BB1_6 Depth=1
	s_add_i32 s6, s6, 1
	v_mov_b32_e32 v1, s6
	global_store_dword v2, v1, s[4:5]
	s_branch .LBB1_4
.LBB1_217:                              ;   in Loop: Header=BB1_6 Depth=1
	s_mov_b32 s7, 0
	s_mov_b32 s38, -2
	s_add_i32 s37, s38, s10
	s_add_i32 s39, s37, 1
	s_cmp_eq_u32 s6, s39
	s_cbranch_scc0 .LBB1_177
	s_branch .LBB1_192
.LBB1_218:
	s_add_i32 s1, s54, 1
.LBB1_219:
	s_and_saveexec_b32 s2, s0
	s_cbranch_execz .LBB1_221
; %bb.220:
	v_mov_b32_e32 v1, 0
	s_lshl_b64 s[4:5], s[26:27], 2
	s_add_u32 s6, s16, s4
	s_addc_u32 s7, s17, s5
	ds_read_b32 v2, v1 offset:2052
	s_add_u32 s4, s14, s4
	s_addc_u32 s5, s15, s5
	s_not_b32 s0, s10
	s_add_i32 s0, s22, s0
	v_mov_b32_e32 v3, s0
	global_store_dword v1, v3, s[6:7]
	s_waitcnt lgkmcnt(0)
	global_store_dword v1, v2, s[4:5]
.LBB1_221:
	s_or_b32 exec_lo, exec_lo, s2
	s_abs_i32 s0, s23
	s_abs_i32 s4, s10
	v_cvt_f32_u32_e32 v1, s0
	s_sub_i32 s3, 0, s0
	s_mov_b32 s5, 0
	v_rcp_iflag_f32_e32 v1, v1
	v_mul_f32_e32 v1, 0x4f7ffffe, v1
	v_cvt_u32_f32_e32 v1, v1
	v_readfirstlane_b32 s2, v1
	s_mul_i32 s3, s3, s2
	s_mul_hi_u32 s3, s2, s3
	s_add_i32 s2, s2, s3
	s_ashr_i32 s3, s10, 31
	s_mul_hi_u32 s2, s4, s2
	s_mul_i32 s2, s2, s0
	s_sub_i32 s2, s4, s2
	s_sub_i32 s4, s2, s0
	s_cmp_ge_u32 s2, s0
	s_cselect_b32 s2, s4, s2
	s_sub_i32 s4, s2, s0
	s_cmp_ge_u32 s2, s0
	s_cselect_b32 s0, s4, s2
	s_add_i32 s2, s10, 1
	s_xor_b32 s0, s0, s3
	s_sub_i32 s0, s3, s0
	s_add_i32 s4, s10, s0
	s_cmp_lt_i32 s4, 0
	s_cbranch_scc1 .LBB1_240
; %bb.222:
	s_not_b32 s3, s10
	s_mul_i32 s0, s2, s21
	s_mul_i32 s6, s1, s22
	s_add_i32 s3, s22, s3
	s_ashr_i32 s1, s0, 31
	s_ashr_i32 s7, s6, 31
	s_cmp_gt_i32 s3, 0
	v_mov_b32_e32 v2, 0
	s_cselect_b32 s14, -1, 0
	s_lshl_b64 s[0:1], s[0:1], 2
	s_add_u32 s15, s20, s0
	s_addc_u32 s16, s33, s1
	s_lshl_b64 s[10:11], s[12:13], 2
	s_lshl_b64 s[6:7], s[6:7], 2
	s_add_u32 s6, s10, s6
	s_addc_u32 s7, s11, s7
	s_add_u32 s17, s24, s6
	s_addc_u32 s24, s25, s7
	s_ashr_i32 s7, s22, 31
	s_mov_b32 s6, s22
	s_lshl_b64 s[6:7], s[6:7], 2
	s_add_u32 s8, s8, s28
	s_addc_u32 s9, s9, s29
	s_add_u32 s0, s8, s0
	s_addc_u32 s1, s9, s1
	;; [unrolled: 2-line block ×3, first 2 shown]
	v_add_co_u32 v9, s0, s0, v12
	v_add_co_ci_u32_e64 v10, null, s1, 0, s0
	s_ashr_i32 s1, s21, 31
	s_mov_b32 s0, s21
	s_lshl_b64 s[8:9], s[0:1], 2
	s_branch .LBB1_224
.LBB1_223:                              ;   in Loop: Header=BB1_224 Depth=1
	s_or_b32 exec_lo, exec_lo, s1
	s_sub_i32 s4, s4, s23
	s_cmp_gt_i32 s4, -1
	s_cbranch_scc0 .LBB1_240
.LBB1_224:                              ; =>This Loop Header: Depth=1
                                        ;     Child Loop BB1_227 Depth 2
                                        ;       Child Loop BB1_230 Depth 3
                                        ;         Child Loop BB1_232 Depth 4
                                        ;     Child Loop BB1_237 Depth 2
                                        ;       Child Loop BB1_239 Depth 3
	s_lshl_b64 s[0:1], s[4:5], 2
	s_add_u32 s10, s17, s0
	s_addc_u32 s11, s24, s1
	s_sub_i32 s12, s2, s4
	s_min_i32 s18, s12, s23
	s_cmp_lt_i32 s18, 1
	s_cbranch_scc1 .LBB1_233
; %bb.225:                              ;   in Loop: Header=BB1_224 Depth=1
	v_add_co_u32 v3, vcc_lo, v9, s0
	v_add_co_ci_u32_e64 v4, null, s1, v10, vcc_lo
	s_add_i32 s19, s18, s4
	s_add_u32 s25, s20, s0
	s_addc_u32 s26, s33, s1
	s_mov_b64 s[12:13], s[10:11]
	s_mov_b32 s27, s4
	s_branch .LBB1_227
.LBB1_226:                              ;   in Loop: Header=BB1_227 Depth=2
	s_inst_prefetch 0x2
	s_or_b32 exec_lo, exec_lo, s29
	s_add_i32 s27, s27, 1
	s_add_u32 s12, s12, 4
	s_addc_u32 s13, s13, 0
	s_cmp_lt_i32 s27, s19
	s_cbranch_scc0 .LBB1_233
.LBB1_227:                              ;   Parent Loop BB1_224 Depth=1
                                        ; =>  This Loop Header: Depth=2
                                        ;       Child Loop BB1_230 Depth 3
                                        ;         Child Loop BB1_232 Depth 4
	s_sub_i32 s28, s27, s4
	s_mov_b32 s29, exec_lo
	v_cmpx_ge_i32_e64 s28, v0
	s_cbranch_execz .LBB1_226
; %bb.228:                              ;   in Loop: Header=BB1_227 Depth=2
	s_mul_i32 s0, s27, s21
	v_mov_b32_e32 v6, v4
	s_ashr_i32 s1, s0, 31
	v_mov_b32_e32 v5, v3
	s_lshl_b64 s[0:1], s[0:1], 2
	v_mov_b32_e32 v1, v0
	s_add_u32 s30, s25, s0
	s_addc_u32 s31, s26, s1
	s_mov_b32 s34, 0
	s_inst_prefetch 0x1
	s_branch .LBB1_230
	.p2align	6
.LBB1_229:                              ;   in Loop: Header=BB1_230 Depth=3
	v_lshlrev_b64 v[7:8], 2, v[1:2]
	v_add_nc_u32_e32 v1, 0x100, v1
	v_add_co_u32 v5, s0, 0x400, v5
	v_add_co_ci_u32_e64 v6, null, 0, v6, s0
	v_add_co_u32 v7, vcc_lo, s30, v7
	v_add_co_ci_u32_e64 v8, null, s31, v8, vcc_lo
	v_cmp_lt_i32_e32 vcc_lo, s28, v1
	global_load_dword v13, v[7:8], off
	s_or_b32 s34, vcc_lo, s34
	s_waitcnt vmcnt(0)
	v_sub_f32_e32 v12, v13, v12
	global_store_dword v[7:8], v12, off
	s_andn2_b32 exec_lo, exec_lo, s34
	s_cbranch_execz .LBB1_226
.LBB1_230:                              ;   Parent Loop BB1_224 Depth=1
                                        ;     Parent Loop BB1_227 Depth=2
                                        ; =>    This Loop Header: Depth=3
                                        ;         Child Loop BB1_232 Depth 4
	v_mov_b32_e32 v12, 0
	s_andn2_b32 vcc_lo, exec_lo, s14
	s_cbranch_vccnz .LBB1_229
; %bb.231:                              ;   in Loop: Header=BB1_230 Depth=3
	v_mov_b32_e32 v8, v6
	v_mov_b32_e32 v7, v5
	s_mov_b64 s[0:1], s[12:13]
	s_mov_b32 s35, s3
.LBB1_232:                              ;   Parent Loop BB1_224 Depth=1
                                        ;     Parent Loop BB1_227 Depth=2
                                        ;       Parent Loop BB1_230 Depth=3
                                        ; =>      This Inner Loop Header: Depth=4
	global_load_dword v13, v[7:8], off
	global_load_dword v14, v2, s[0:1]
	v_add_co_u32 v7, vcc_lo, v7, s8
	s_add_i32 s35, s35, -1
	v_add_co_ci_u32_e64 v8, null, s9, v8, vcc_lo
	s_add_u32 s0, s0, s6
	s_addc_u32 s1, s1, s7
	s_cmp_eq_u32 s35, 0
	s_waitcnt vmcnt(0)
	v_fmac_f32_e32 v12, v13, v14
	s_cbranch_scc0 .LBB1_232
	s_branch .LBB1_229
.LBB1_233:                              ;   in Loop: Header=BB1_224 Depth=1
	s_mul_i32 s0, s18, s4
	s_mov_b32 s1, exec_lo
	v_cmpx_gt_i32_e64 s0, v0
	s_cbranch_execz .LBB1_223
; %bb.234:                              ;   in Loop: Header=BB1_224 Depth=1
	v_cvt_f32_u32_e32 v1, s4
	s_mul_i32 s12, s4, s21
	v_mov_b32_e32 v12, v0
	s_ashr_i32 s13, s12, 31
	s_lshl_b64 s[12:13], s[12:13], 2
	v_rcp_iflag_f32_e32 v1, v1
	s_add_u32 s12, s20, s12
	s_addc_u32 s13, s33, s13
	s_sub_i32 s18, 0, s4
	v_mul_f32_e32 v1, 0x4f7ffffe, v1
	v_cvt_u32_f32_e32 v1, v1
	v_mul_lo_u32 v3, s18, v1
	s_mov_b32 s18, 0
	v_mul_hi_u32 v3, v1, v3
	v_add_nc_u32_e32 v8, v1, v3
	s_branch .LBB1_237
.LBB1_235:                              ;   in Loop: Header=BB1_237 Depth=2
	v_mov_b32_e32 v13, 0
.LBB1_236:                              ;   in Loop: Header=BB1_237 Depth=2
	v_mad_u64_u32 v[3:4], null, v3, s21, v[1:2]
	v_add_nc_u32_e32 v12, 0x100, v12
	v_ashrrev_i32_e32 v4, 31, v3
	v_lshlrev_b64 v[3:4], 2, v[3:4]
	v_add_co_u32 v3, vcc_lo, s12, v3
	v_add_co_ci_u32_e64 v4, null, s13, v4, vcc_lo
	v_cmp_le_i32_e32 vcc_lo, s0, v12
	global_load_dword v1, v[3:4], off
	s_or_b32 s18, vcc_lo, s18
	s_waitcnt vmcnt(0)
	v_sub_f32_e32 v1, v1, v13
	global_store_dword v[3:4], v1, off
	s_andn2_b32 exec_lo, exec_lo, s18
	s_cbranch_execz .LBB1_223
.LBB1_237:                              ;   Parent Loop BB1_224 Depth=1
                                        ; =>  This Loop Header: Depth=2
                                        ;       Child Loop BB1_239 Depth 3
	v_mul_hi_u32 v1, v12, v8
	v_mul_lo_u32 v3, v1, s4
	v_add_nc_u32_e32 v4, 1, v1
	v_sub_nc_u32_e32 v3, v12, v3
	v_subrev_nc_u32_e32 v5, s4, v3
	v_cmp_le_u32_e32 vcc_lo, s4, v3
	v_cndmask_b32_e32 v1, v1, v4, vcc_lo
	v_cndmask_b32_e32 v3, v3, v5, vcc_lo
	v_add_nc_u32_e32 v4, 1, v1
	v_cmp_le_u32_e32 vcc_lo, s4, v3
	v_cndmask_b32_e32 v3, v1, v4, vcc_lo
	s_andn2_b32 vcc_lo, exec_lo, s14
	v_mul_lo_u32 v1, v3, s4
	v_sub_nc_u32_e32 v1, v12, v1
	s_cbranch_vccnz .LBB1_235
; %bb.238:                              ;   in Loop: Header=BB1_237 Depth=2
	v_ashrrev_i32_e32 v4, 31, v3
	v_mov_b32_e32 v13, 0
	v_mov_b32_e32 v6, v1
	s_mov_b32 s19, s3
	v_lshlrev_b64 v[4:5], 2, v[3:4]
	v_add_co_u32 v4, vcc_lo, s10, v4
	v_add_co_ci_u32_e64 v5, null, s11, v5, vcc_lo
	.p2align	6
.LBB1_239:                              ;   Parent Loop BB1_224 Depth=1
                                        ;     Parent Loop BB1_237 Depth=2
                                        ; =>    This Inner Loop Header: Depth=3
	v_ashrrev_i32_e32 v7, 31, v6
	s_add_i32 s19, s19, -1
	s_cmp_eq_u32 s19, 0
	v_lshlrev_b64 v[14:15], 2, v[6:7]
	v_add_nc_u32_e32 v6, s21, v6
	v_add_co_u32 v14, vcc_lo, s15, v14
	v_add_co_ci_u32_e64 v15, null, s16, v15, vcc_lo
	global_load_dword v7, v[4:5], off
	global_load_dword v14, v[14:15], off
	v_add_co_u32 v4, vcc_lo, v4, s6
	v_add_co_ci_u32_e64 v5, null, s7, v5, vcc_lo
	s_waitcnt vmcnt(0)
	v_fmac_f32_e32 v13, v14, v7
	s_cbranch_scc0 .LBB1_239
	s_branch .LBB1_236
.LBB1_240:
	s_cmp_ge_i32 s2, s42
	s_waitcnt lgkmcnt(0)
	s_waitcnt_vscnt null, 0x0
	s_barrier
	buffer_gl0_inv
	s_cbranch_scc1 .LBB1_248
; %bb.241:
	v_mov_b32_e32 v1, 0
	s_lshl_b32 s0, s21, 8
	s_branch .LBB1_244
.LBB1_242:                              ;   in Loop: Header=BB1_244 Depth=1
	s_or_b32 exec_lo, exec_lo, s5
	s_waitcnt_vscnt null, 0x0
	s_barrier
	buffer_gl0_inv
.LBB1_243:                              ;   in Loop: Header=BB1_244 Depth=1
	s_cmp_lt_i32 s1, s42
	s_mov_b32 s2, s1
	s_cbranch_scc0 .LBB1_248
.LBB1_244:                              ; =>This Loop Header: Depth=1
                                        ;     Child Loop BB1_247 Depth 2
	s_ashr_i32 s3, s2, 31
	s_lshl_b64 s[4:5], s[2:3], 2
	s_add_u32 s4, s40, s4
	s_addc_u32 s5, s41, s5
	global_load_dword v2, v1, s[4:5]
	s_waitcnt vmcnt(0)
	v_readfirstlane_b32 s1, v2
	s_not_b32 s3, s1
	s_add_i32 s4, s1, -1
	s_cmp_lt_i32 s1, 0
	s_cselect_b32 s3, s3, s4
	s_lshr_b32 s6, s1, 31
	s_add_i32 s1, s2, s6
	s_add_i32 s1, s1, 1
	s_cmp_eq_u32 s3, s2
	s_cselect_b32 s4, -1, 0
	s_cmp_le_i32 s22, s1
	s_cselect_b32 s5, -1, 0
	s_or_b32 s4, s4, s5
	s_and_b32 vcc_lo, exec_lo, s4
	s_cbranch_vccnz .LBB1_243
; %bb.245:                              ;   in Loop: Header=BB1_244 Depth=1
	s_sub_i32 s4, s22, s1
	s_mov_b32 s5, exec_lo
	v_cmpx_gt_i32_e64 s4, v0
	s_cbranch_execz .LBB1_242
; %bb.246:                              ;   in Loop: Header=BB1_244 Depth=1
	v_add3_u32 v2, s6, s2, v11
	v_mov_b32_e32 v3, v0
	s_mov_b32 s6, 0
	v_mul_lo_u32 v2, s21, v2
	.p2align	6
.LBB1_247:                              ;   Parent Loop BB1_244 Depth=1
                                        ; =>  This Inner Loop Header: Depth=2
	v_add_nc_u32_e32 v4, s2, v2
	v_add_nc_u32_e32 v6, s3, v2
	;; [unrolled: 1-line block ×4, first 2 shown]
	v_ashrrev_i32_e32 v5, 31, v4
	v_ashrrev_i32_e32 v7, 31, v6
	v_lshlrev_b64 v[4:5], 2, v[4:5]
	v_lshlrev_b64 v[6:7], 2, v[6:7]
	v_add_co_u32 v4, vcc_lo, s20, v4
	v_add_co_ci_u32_e64 v5, null, s33, v5, vcc_lo
	v_add_co_u32 v6, vcc_lo, s20, v6
	v_add_co_ci_u32_e64 v7, null, s33, v7, vcc_lo
	s_clause 0x1
	global_load_dword v8, v[4:5], off
	global_load_dword v9, v[6:7], off
	v_cmp_le_i32_e32 vcc_lo, s4, v3
	s_waitcnt vmcnt(1)
	global_store_dword v[6:7], v8, off
	s_waitcnt vmcnt(0)
	global_store_dword v[4:5], v9, off
	s_or_b32 s6, vcc_lo, s6
	s_andn2_b32 exec_lo, exec_lo, s6
	s_cbranch_execnz .LBB1_247
	s_branch .LBB1_242
.LBB1_248:
	s_endpgm
	.section	.rodata,"a",@progbits
	.p2align	6, 0x0
	.amdhsa_kernel _ZN9rocsolver6v33100L18lasyf_kernel_upperIfPfEEviiPiT0_iilS3_lS3_PT_
		.amdhsa_group_segment_fixed_size 2068
		.amdhsa_private_segment_fixed_size 0
		.amdhsa_kernarg_size 72
		.amdhsa_user_sgpr_count 6
		.amdhsa_user_sgpr_private_segment_buffer 1
		.amdhsa_user_sgpr_dispatch_ptr 0
		.amdhsa_user_sgpr_queue_ptr 0
		.amdhsa_user_sgpr_kernarg_segment_ptr 1
		.amdhsa_user_sgpr_dispatch_id 0
		.amdhsa_user_sgpr_flat_scratch_init 0
		.amdhsa_user_sgpr_private_segment_size 0
		.amdhsa_wavefront_size32 1
		.amdhsa_uses_dynamic_stack 0
		.amdhsa_system_sgpr_private_segment_wavefront_offset 0
		.amdhsa_system_sgpr_workgroup_id_x 1
		.amdhsa_system_sgpr_workgroup_id_y 1
		.amdhsa_system_sgpr_workgroup_id_z 0
		.amdhsa_system_sgpr_workgroup_info 0
		.amdhsa_system_vgpr_workitem_id 0
		.amdhsa_next_free_vgpr 31
		.amdhsa_next_free_sgpr 62
		.amdhsa_reserve_vcc 1
		.amdhsa_reserve_flat_scratch 0
		.amdhsa_float_round_mode_32 0
		.amdhsa_float_round_mode_16_64 0
		.amdhsa_float_denorm_mode_32 3
		.amdhsa_float_denorm_mode_16_64 3
		.amdhsa_dx10_clamp 1
		.amdhsa_ieee_mode 1
		.amdhsa_fp16_overflow 0
		.amdhsa_workgroup_processor_mode 1
		.amdhsa_memory_ordered 1
		.amdhsa_forward_progress 1
		.amdhsa_shared_vgpr_count 0
		.amdhsa_exception_fp_ieee_invalid_op 0
		.amdhsa_exception_fp_denorm_src 0
		.amdhsa_exception_fp_ieee_div_zero 0
		.amdhsa_exception_fp_ieee_overflow 0
		.amdhsa_exception_fp_ieee_underflow 0
		.amdhsa_exception_fp_ieee_inexact 0
		.amdhsa_exception_int_div_zero 0
	.end_amdhsa_kernel
	.section	.text._ZN9rocsolver6v33100L18lasyf_kernel_upperIfPfEEviiPiT0_iilS3_lS3_PT_,"axG",@progbits,_ZN9rocsolver6v33100L18lasyf_kernel_upperIfPfEEviiPiT0_iilS3_lS3_PT_,comdat
.Lfunc_end1:
	.size	_ZN9rocsolver6v33100L18lasyf_kernel_upperIfPfEEviiPiT0_iilS3_lS3_PT_, .Lfunc_end1-_ZN9rocsolver6v33100L18lasyf_kernel_upperIfPfEEviiPiT0_iilS3_lS3_PT_
                                        ; -- End function
	.set _ZN9rocsolver6v33100L18lasyf_kernel_upperIfPfEEviiPiT0_iilS3_lS3_PT_.num_vgpr, 31
	.set _ZN9rocsolver6v33100L18lasyf_kernel_upperIfPfEEviiPiT0_iilS3_lS3_PT_.num_agpr, 0
	.set _ZN9rocsolver6v33100L18lasyf_kernel_upperIfPfEEviiPiT0_iilS3_lS3_PT_.numbered_sgpr, 62
	.set _ZN9rocsolver6v33100L18lasyf_kernel_upperIfPfEEviiPiT0_iilS3_lS3_PT_.num_named_barrier, 0
	.set _ZN9rocsolver6v33100L18lasyf_kernel_upperIfPfEEviiPiT0_iilS3_lS3_PT_.private_seg_size, 0
	.set _ZN9rocsolver6v33100L18lasyf_kernel_upperIfPfEEviiPiT0_iilS3_lS3_PT_.uses_vcc, 1
	.set _ZN9rocsolver6v33100L18lasyf_kernel_upperIfPfEEviiPiT0_iilS3_lS3_PT_.uses_flat_scratch, 0
	.set _ZN9rocsolver6v33100L18lasyf_kernel_upperIfPfEEviiPiT0_iilS3_lS3_PT_.has_dyn_sized_stack, 0
	.set _ZN9rocsolver6v33100L18lasyf_kernel_upperIfPfEEviiPiT0_iilS3_lS3_PT_.has_recursion, 0
	.set _ZN9rocsolver6v33100L18lasyf_kernel_upperIfPfEEviiPiT0_iilS3_lS3_PT_.has_indirect_call, 0
	.section	.AMDGPU.csdata,"",@progbits
; Kernel info:
; codeLenInByte = 10640
; TotalNumSgprs: 64
; NumVgprs: 31
; ScratchSize: 0
; MemoryBound: 0
; FloatMode: 240
; IeeeMode: 1
; LDSByteSize: 2068 bytes/workgroup (compile time only)
; SGPRBlocks: 0
; VGPRBlocks: 3
; NumSGPRsForWavesPerEU: 64
; NumVGPRsForWavesPerEU: 31
; Occupancy: 16
; WaveLimiterHint : 1
; COMPUTE_PGM_RSRC2:SCRATCH_EN: 0
; COMPUTE_PGM_RSRC2:USER_SGPR: 6
; COMPUTE_PGM_RSRC2:TRAP_HANDLER: 0
; COMPUTE_PGM_RSRC2:TGID_X_EN: 1
; COMPUTE_PGM_RSRC2:TGID_Y_EN: 1
; COMPUTE_PGM_RSRC2:TGID_Z_EN: 0
; COMPUTE_PGM_RSRC2:TIDIG_COMP_CNT: 0
	.section	.text._ZN9rocsolver6v33100L18lasyf_kernel_lowerIfPfEEviiPiT0_iilS3_lS3_PT_,"axG",@progbits,_ZN9rocsolver6v33100L18lasyf_kernel_lowerIfPfEEviiPiT0_iilS3_lS3_PT_,comdat
	.globl	_ZN9rocsolver6v33100L18lasyf_kernel_lowerIfPfEEviiPiT0_iilS3_lS3_PT_ ; -- Begin function _ZN9rocsolver6v33100L18lasyf_kernel_lowerIfPfEEviiPiT0_iilS3_lS3_PT_
	.p2align	8
	.type	_ZN9rocsolver6v33100L18lasyf_kernel_lowerIfPfEEviiPiT0_iilS3_lS3_PT_,@function
_ZN9rocsolver6v33100L18lasyf_kernel_lowerIfPfEEviiPiT0_iilS3_lS3_PT_: ; @_ZN9rocsolver6v33100L18lasyf_kernel_lowerIfPfEEviiPiT0_iilS3_lS3_PT_
; %bb.0:
	v_cmp_eq_u32_e64 s0, 0, v0
	s_mov_b32 s24, s7
	s_and_saveexec_b32 s1, s0
; %bb.1:
	v_mov_b32_e32 v1, 0
	ds_write_b32 v1, v1 offset:2052
; %bb.2:
	s_or_b32 exec_lo, exec_lo, s1
	s_clause 0x4
	s_load_dwordx2 s[20:21], s[4:5], 0x18
	s_load_dwordx8 s[8:15], s[4:5], 0x20
	s_load_dwordx2 s[22:23], s[4:5], 0x0
	s_load_dwordx4 s[16:19], s[4:5], 0x8
	s_load_dwordx2 s[26:27], s[4:5], 0x40
	s_ashr_i32 s25, s24, 31
	v_lshlrev_b32_e32 v25, 2, v0
	s_waitcnt lgkmcnt(0)
	s_ashr_i32 s3, s20, 31
	s_mul_hi_u32 s1, s8, s24
	s_mul_i32 s4, s8, s25
	s_mul_i32 s5, s9, s24
	s_add_i32 s1, s1, s4
	s_mul_i32 s4, s8, s24
	s_add_i32 s5, s1, s5
	s_mov_b32 s2, s20
	s_lshl_b64 s[28:29], s[4:5], 2
	s_mul_i32 s1, s22, s24
	s_add_u32 s5, s18, s28
	s_addc_u32 s6, s19, s29
	s_lshl_b64 s[30:31], s[2:3], 2
	s_mul_i32 s2, s1, s23
	s_add_u32 s20, s5, s30
	s_addc_u32 s33, s6, s31
	s_ashr_i32 s3, s2, 31
	s_mul_hi_u32 s4, s12, s24
	s_lshl_b64 s[34:35], s[2:3], 2
	s_mul_i32 s1, s12, s25
	s_add_u32 s8, s26, s34
	s_mul_i32 s3, s13, s24
	s_addc_u32 s9, s27, s35
	s_add_i32 s1, s4, s1
	s_mul_i32 s2, s12, s24
	s_add_i32 s3, s1, s3
	v_mul_lo_u32 v24, v0, s21
	s_lshl_b64 s[2:3], s[2:3], 2
	s_add_u32 s40, s10, s2
	s_addc_u32 s41, s11, s3
	s_cmp_lt_i32 s22, 1
	s_cbranch_scc1 .LBB2_248
; %bb.3:
	s_add_i32 s42, s23, -1
	s_cmp_eq_u32 s23, s22
	v_mul_lo_u32 v29, v0, s22
	s_cselect_b32 s43, -1, 0
	s_add_i32 s44, s22, -1
	s_add_i32 s45, s21, 1
	s_add_i32 s46, s22, -2
	s_add_i32 s47, s22, 1
	s_add_u32 s48, s26, s34
	s_addc_u32 s49, s27, s35
	s_add_u32 s4, s28, s30
	s_addc_u32 s5, s29, s31
	s_add_u32 s50, s18, s4
	v_add_co_u32 v30, s6, s48, v25
	v_add_nc_u32_e32 v3, 2, v0
	s_addc_u32 s51, s19, s5
	v_mov_b32_e32 v5, 0
	v_add_co_u32 v27, s4, s50, v25
	v_add_co_ci_u32_e64 v31, null, s49, 0, s6
	v_add_co_ci_u32_e64 v28, null, s51, 0, s4
	s_ashr_i32 s5, s21, 31
	s_mov_b32 s4, s21
	v_mul_lo_u32 v34, v0, s21
	v_add_co_u32 v32, vcc_lo, v30, 4
	s_lshl_b64 s[36:37], s[4:5], 2
	s_lshl_b32 s4, s22, 8
	v_or_b32_e32 v26, 0x400, v25
	v_cmp_gt_u32_e64 s1, 0x80, v0
	v_cmp_gt_u32_e64 s2, 64, v0
	;; [unrolled: 1-line block ×3, first 2 shown]
	v_add_co_ci_u32_e64 v33, null, 0, v31, vcc_lo
	v_ashrrev_i32_e32 v35, 31, v29
	v_add_nc_u32_e32 v36, s21, v3
	v_mov_b32_e32 v1, v5
	s_mov_b32 s11, 0
	s_mov_b32 s10, s22
	s_ashr_i32 s5, s4, 31
	s_lshl_b64 s[12:13], s[10:11], 2
	s_lshl_b32 s10, s21, 8
	s_lshl_b64 s[38:39], s[4:5], 2
                                        ; implicit-def: $sgpr52
	s_branch .LBB2_6
.LBB2_4:                                ;   in Loop: Header=BB2_6 Depth=1
	s_or_b32 exec_lo, exec_lo, s4
	v_add_nc_u32_e32 v1, v4, v1
	s_andn2_b32 s4, s52, exec_lo
	v_cmp_le_i32_e32 vcc_lo, s22, v1
	s_and_b32 s5, vcc_lo, exec_lo
	s_or_b32 s52, s4, s5
.LBB2_5:                                ;   in Loop: Header=BB2_6 Depth=1
	s_or_b32 exec_lo, exec_lo, s53
	s_and_b32 s4, exec_lo, s52
	s_or_b32 s11, s4, s11
	s_andn2_b32 exec_lo, exec_lo, s11
	s_cbranch_execz .LBB2_216
.LBB2_6:                                ; =>This Loop Header: Depth=1
                                        ;     Child Loop BB2_11 Depth 2
                                        ;     Child Loop BB2_16 Depth 2
                                        ;       Child Loop BB2_18 Depth 3
                                        ;     Child Loop BB2_22 Depth 2
                                        ;     Child Loop BB2_66 Depth 2
	;; [unrolled: 1-line block ×4, first 2 shown]
                                        ;       Child Loop BB2_78 Depth 3
                                        ;     Child Loop BB2_83 Depth 2
                                        ;     Child Loop BB2_126 Depth 2
	;; [unrolled: 1-line block ×9, first 2 shown]
	v_cmp_gt_i32_e32 vcc_lo, s42, v1
	s_or_b32 s52, s52, exec_lo
	s_or_b32 s4, s43, vcc_lo
	s_and_saveexec_b32 s53, s4
	s_cbranch_execz .LBB2_5
; %bb.7:                                ;   in Loop: Header=BB2_6 Depth=1
	v_sub_nc_u32_e32 v39, s22, v1
	v_mul_lo_u32 v10, v1, s22
	s_mov_b32 s4, exec_lo
	v_cmp_lt_i32_e64 s5, v0, v39
	v_cmpx_ge_i32_e64 v0, v39
	s_xor_b32 s4, exec_lo, s4
; %bb.8:                                ;   in Loop: Header=BB2_6 Depth=1
	v_mul_lo_u32 v10, v1, s22
; %bb.9:                                ;   in Loop: Header=BB2_6 Depth=1
	s_andn2_saveexec_b32 s6, s4
	s_cbranch_execz .LBB2_13
; %bb.10:                               ;   in Loop: Header=BB2_6 Depth=1
	v_mad_u64_u32 v[6:7], null, s45, v1, v[0:1]
	v_mad_u64_u32 v[8:9], null, s47, v1, v[0:1]
	v_mov_b32_e32 v9, v5
	v_mov_b32_e32 v2, v0
	s_mov_b32 s7, 0
	v_ashrrev_i32_e32 v7, 31, v6
	v_lshlrev_b64 v[8:9], 2, v[8:9]
	v_lshlrev_b64 v[11:12], 2, v[6:7]
	v_add_co_u32 v6, vcc_lo, s48, v8
	v_add_co_ci_u32_e64 v7, null, s49, v9, vcc_lo
	v_add_co_u32 v8, vcc_lo, s50, v11
	v_add_co_ci_u32_e64 v9, null, s51, v12, vcc_lo
	.p2align	6
.LBB2_11:                               ;   Parent Loop BB2_6 Depth=1
                                        ; =>  This Inner Loop Header: Depth=2
	global_load_dword v4, v[8:9], off
	v_add_nc_u32_e32 v2, 0x100, v2
	v_add_co_u32 v8, vcc_lo, 0x400, v8
	v_add_co_ci_u32_e64 v9, null, 0, v9, vcc_lo
	v_cmp_ge_i32_e32 vcc_lo, v2, v39
	s_or_b32 s7, vcc_lo, s7
	s_waitcnt vmcnt(0)
	global_store_dword v[6:7], v4, off
	v_add_co_u32 v6, s4, 0x400, v6
	v_add_co_ci_u32_e64 v7, null, 0, v7, s4
	s_andn2_b32 exec_lo, exec_lo, s7
	s_cbranch_execnz .LBB2_11
; %bb.12:                               ;   in Loop: Header=BB2_6 Depth=1
	s_or_b32 exec_lo, exec_lo, s7
.LBB2_13:                               ;   in Loop: Header=BB2_6 Depth=1
	s_or_b32 exec_lo, exec_lo, s6
	v_mov_b32_e32 v2, v5
	v_ashrrev_i32_e32 v11, 31, v10
	s_waitcnt_vscnt null, 0x0
	s_barrier
	buffer_gl0_inv
	v_lshlrev_b64 v[6:7], 2, v[1:2]
	v_lshlrev_b64 v[14:15], 2, v[10:11]
	v_add_co_u32 v12, vcc_lo, s8, v6
	v_add_co_ci_u32_e64 v13, null, s9, v7, vcc_lo
	v_add_co_u32 v8, vcc_lo, v12, v14
	v_add_co_ci_u32_e64 v9, null, v13, v15, vcc_lo
	s_and_saveexec_b32 s7, s5
	s_cbranch_execz .LBB2_20
; %bb.14:                               ;   in Loop: Header=BB2_6 Depth=1
	v_add_co_u32 v16, s4, v27, v6
	v_add_co_ci_u32_e64 v17, null, v28, v7, s4
	v_mov_b32_e32 v4, v0
	s_mov_b32 s54, 0
	v_cmp_ne_u32_e32 vcc_lo, 0, v1
	s_branch .LBB2_16
.LBB2_15:                               ;   in Loop: Header=BB2_16 Depth=2
	s_or_b32 exec_lo, exec_lo, s55
	v_lshlrev_b64 v[18:19], 2, v[4:5]
	v_add_nc_u32_e32 v4, 0x100, v4
	v_add_co_u32 v16, s6, 0x400, v16
	v_add_co_ci_u32_e64 v17, null, 0, v17, s6
	v_add_co_u32 v18, s4, v8, v18
	v_add_co_ci_u32_e64 v19, null, v9, v19, s4
	v_cmp_ge_i32_e64 s4, v4, v39
	global_load_dword v20, v[18:19], off
	s_or_b32 s54, s4, s54
	s_waitcnt vmcnt(0)
	v_sub_f32_e32 v2, v20, v2
	global_store_dword v[18:19], v2, off
	s_andn2_b32 exec_lo, exec_lo, s54
	s_cbranch_execz .LBB2_20
.LBB2_16:                               ;   Parent Loop BB2_6 Depth=1
                                        ; =>  This Loop Header: Depth=2
                                        ;       Child Loop BB2_18 Depth 3
	v_mov_b32_e32 v2, 0
	s_and_saveexec_b32 s55, vcc_lo
	s_cbranch_execz .LBB2_15
; %bb.17:                               ;   in Loop: Header=BB2_16 Depth=2
	v_mov_b32_e32 v19, v17
	v_mov_b32_e32 v21, v13
	;; [unrolled: 1-line block ×6, first 2 shown]
	s_mov_b32 s56, 0
	.p2align	6
.LBB2_18:                               ;   Parent Loop BB2_6 Depth=1
                                        ;     Parent Loop BB2_16 Depth=2
                                        ; =>    This Inner Loop Header: Depth=3
	global_load_dword v23, v[18:19], off
	global_load_dword v37, v[20:21], off
	v_add_nc_u32_e32 v22, -1, v22
	v_add_co_u32 v20, s4, v20, s12
	v_add_co_ci_u32_e64 v21, null, s13, v21, s4
	v_add_co_u32 v18, s4, v18, s36
	v_cmp_eq_u32_e64 s6, 0, v22
	v_add_co_ci_u32_e64 v19, null, s37, v19, s4
	s_or_b32 s56, s6, s56
	s_waitcnt vmcnt(0)
	v_fmac_f32_e32 v2, v23, v37
	s_andn2_b32 exec_lo, exec_lo, s56
	s_cbranch_execnz .LBB2_18
; %bb.19:                               ;   in Loop: Header=BB2_16 Depth=2
	s_or_b32 exec_lo, exec_lo, s56
	s_branch .LBB2_15
.LBB2_20:                               ;   in Loop: Header=BB2_6 Depth=1
	s_or_b32 exec_lo, exec_lo, s7
	v_add_nc_u32_e32 v37, -1, v39
	v_mov_b32_e32 v2, 0
	v_bfrev_b32_e32 v4, -2
	s_waitcnt_vscnt null, 0x0
	s_barrier
	v_cmp_lt_i32_e64 s4, v0, v37
	buffer_gl0_inv
	s_and_saveexec_b32 s7, s4
	s_cbranch_execz .LBB2_24
; %bb.21:                               ;   in Loop: Header=BB2_6 Depth=1
	v_add_co_u32 v2, vcc_lo, v14, v6
	v_add_co_ci_u32_e64 v4, null, v15, v7, vcc_lo
	v_mov_b32_e32 v16, v0
	v_add_co_u32 v14, vcc_lo, v32, v2
	v_add_co_ci_u32_e64 v15, null, v33, v4, vcc_lo
	v_mov_b32_e32 v2, 0
	v_bfrev_b32_e32 v4, -2
	s_mov_b32 s54, 0
	.p2align	6
.LBB2_22:                               ;   Parent Loop BB2_6 Depth=1
                                        ; =>  This Inner Loop Header: Depth=2
	global_load_dword v17, v[14:15], off
	v_cmp_eq_u32_e32 vcc_lo, 0x7fffffff, v4
	v_add_nc_u32_e32 v18, 1, v16
	v_add_nc_u32_e32 v16, 0x100, v16
	v_add_co_u32 v14, s6, 0x400, v14
	v_add_co_ci_u32_e64 v15, null, 0, v15, s6
	v_cmp_ge_i32_e64 s6, v16, v37
	s_waitcnt vmcnt(0)
	v_cmp_lt_f32_e64 s55, v2, |v17|
	s_or_b32 vcc_lo, s55, vcc_lo
	s_or_b32 s54, s6, s54
	v_cndmask_b32_e64 v2, v2, |v17|, vcc_lo
	v_cndmask_b32_e32 v4, v4, v18, vcc_lo
	s_andn2_b32 exec_lo, exec_lo, s54
	s_cbranch_execnz .LBB2_22
; %bb.23:                               ;   in Loop: Header=BB2_6 Depth=1
	s_or_b32 exec_lo, exec_lo, s54
.LBB2_24:                               ;   in Loop: Header=BB2_6 Depth=1
	s_or_b32 exec_lo, exec_lo, s7
	s_mov_b32 s54, exec_lo
	ds_write_b32 v26, v2
	ds_write_b32 v25, v4
	s_waitcnt lgkmcnt(0)
	s_barrier
	buffer_gl0_inv
	v_cmpx_lt_i32_e32 2, v39
	s_cbranch_execz .LBB2_60
; %bb.25:                               ;   in Loop: Header=BB2_6 Depth=1
	s_and_saveexec_b32 s7, s1
	s_cbranch_execz .LBB2_31
; %bb.26:                               ;   in Loop: Header=BB2_6 Depth=1
	ds_read_b32 v14, v26 offset:512
	ds_read_b32 v15, v25 offset:512
	s_mov_b32 s56, exec_lo
	s_waitcnt lgkmcnt(1)
	v_cmp_lt_f32_e64 s55, v2, v14
	v_cmpx_nlt_f32_e32 v2, v14
	s_cbranch_execz .LBB2_28
; %bb.27:                               ;   in Loop: Header=BB2_6 Depth=1
	v_cmp_eq_f32_e32 vcc_lo, v2, v14
	s_waitcnt lgkmcnt(0)
	v_cmp_gt_i32_e64 s6, v4, v15
	s_andn2_b32 s55, s55, exec_lo
	s_and_b32 s6, vcc_lo, s6
	s_and_b32 s6, s6, exec_lo
	s_or_b32 s55, s55, s6
.LBB2_28:                               ;   in Loop: Header=BB2_6 Depth=1
	s_or_b32 exec_lo, exec_lo, s56
	s_and_saveexec_b32 s6, s55
	s_cbranch_execz .LBB2_30
; %bb.29:                               ;   in Loop: Header=BB2_6 Depth=1
	s_waitcnt lgkmcnt(0)
	v_mov_b32_e32 v4, v15
	v_mov_b32_e32 v2, v14
	ds_write_b32 v26, v14
	ds_write_b32 v25, v15
.LBB2_30:                               ;   in Loop: Header=BB2_6 Depth=1
	s_or_b32 exec_lo, exec_lo, s6
.LBB2_31:                               ;   in Loop: Header=BB2_6 Depth=1
	s_or_b32 exec_lo, exec_lo, s7
	s_waitcnt lgkmcnt(0)
	s_barrier
	buffer_gl0_inv
	s_and_saveexec_b32 s7, s2
	s_cbranch_execz .LBB2_37
; %bb.32:                               ;   in Loop: Header=BB2_6 Depth=1
	ds_read_b32 v14, v26 offset:256
	ds_read_b32 v15, v25 offset:256
	s_mov_b32 s56, exec_lo
	s_waitcnt lgkmcnt(1)
	v_cmp_lt_f32_e64 s55, v2, v14
	v_cmpx_nlt_f32_e32 v2, v14
	s_cbranch_execz .LBB2_34
; %bb.33:                               ;   in Loop: Header=BB2_6 Depth=1
	v_cmp_eq_f32_e32 vcc_lo, v2, v14
	s_waitcnt lgkmcnt(0)
	v_cmp_gt_i32_e64 s6, v4, v15
	s_andn2_b32 s55, s55, exec_lo
	s_and_b32 s6, vcc_lo, s6
	s_and_b32 s6, s6, exec_lo
	s_or_b32 s55, s55, s6
.LBB2_34:                               ;   in Loop: Header=BB2_6 Depth=1
	s_or_b32 exec_lo, exec_lo, s56
	s_and_saveexec_b32 s6, s55
	s_cbranch_execz .LBB2_36
; %bb.35:                               ;   in Loop: Header=BB2_6 Depth=1
	s_waitcnt lgkmcnt(0)
	v_mov_b32_e32 v4, v15
	v_mov_b32_e32 v2, v14
	ds_write_b32 v26, v14
	ds_write_b32 v25, v15
.LBB2_36:                               ;   in Loop: Header=BB2_6 Depth=1
	s_or_b32 exec_lo, exec_lo, s6
.LBB2_37:                               ;   in Loop: Header=BB2_6 Depth=1
	s_or_b32 exec_lo, exec_lo, s7
	s_waitcnt lgkmcnt(0)
	s_barrier
	buffer_gl0_inv
	s_and_b32 exec_lo, exec_lo, s3
	s_cbranch_execz .LBB2_60
; %bb.38:                               ;   in Loop: Header=BB2_6 Depth=1
	ds_read_b32 v14, v26 offset:128
	ds_read_b32 v15, v25 offset:128
	s_mov_b32 s55, exec_lo
	s_waitcnt lgkmcnt(1)
	v_cmp_lt_f32_e64 s7, v2, v14
	v_cmpx_nlt_f32_e32 v2, v14
	s_cbranch_execz .LBB2_40
; %bb.39:                               ;   in Loop: Header=BB2_6 Depth=1
	v_cmp_eq_f32_e32 vcc_lo, v2, v14
	s_waitcnt lgkmcnt(0)
	v_cmp_gt_i32_e64 s6, v4, v15
	s_andn2_b32 s7, s7, exec_lo
	s_and_b32 s6, vcc_lo, s6
	s_and_b32 s6, s6, exec_lo
	s_or_b32 s7, s7, s6
.LBB2_40:                               ;   in Loop: Header=BB2_6 Depth=1
	s_or_b32 exec_lo, exec_lo, s55
	s_and_saveexec_b32 s6, s7
	s_cbranch_execz .LBB2_42
; %bb.41:                               ;   in Loop: Header=BB2_6 Depth=1
	v_mov_b32_e32 v2, v14
	s_waitcnt lgkmcnt(0)
	v_mov_b32_e32 v4, v15
	ds_write_b32 v26, v14
	ds_write_b32 v25, v15
.LBB2_42:                               ;   in Loop: Header=BB2_6 Depth=1
	s_or_b32 exec_lo, exec_lo, s6
	ds_read_b32 v14, v26 offset:64
	s_waitcnt lgkmcnt(1)
	ds_read_b32 v15, v25 offset:64
	s_mov_b32 s55, exec_lo
	s_waitcnt lgkmcnt(1)
	v_cmp_lt_f32_e64 s7, v2, v14
	v_cmpx_nlt_f32_e32 v2, v14
	s_cbranch_execz .LBB2_44
; %bb.43:                               ;   in Loop: Header=BB2_6 Depth=1
	v_cmp_eq_f32_e32 vcc_lo, v2, v14
	s_waitcnt lgkmcnt(0)
	v_cmp_gt_i32_e64 s6, v4, v15
	s_andn2_b32 s7, s7, exec_lo
	s_and_b32 s6, vcc_lo, s6
	s_and_b32 s6, s6, exec_lo
	s_or_b32 s7, s7, s6
.LBB2_44:                               ;   in Loop: Header=BB2_6 Depth=1
	s_or_b32 exec_lo, exec_lo, s55
	s_and_saveexec_b32 s6, s7
	s_cbranch_execz .LBB2_46
; %bb.45:                               ;   in Loop: Header=BB2_6 Depth=1
	v_mov_b32_e32 v2, v14
	s_waitcnt lgkmcnt(0)
	v_mov_b32_e32 v4, v15
	ds_write_b32 v26, v14
	ds_write_b32 v25, v15
.LBB2_46:                               ;   in Loop: Header=BB2_6 Depth=1
	s_or_b32 exec_lo, exec_lo, s6
	ds_read_b32 v14, v26 offset:32
	s_waitcnt lgkmcnt(1)
	;; [unrolled: 28-line block ×5, first 2 shown]
	ds_read_b32 v15, v25 offset:4
	s_waitcnt lgkmcnt(1)
	v_cmp_eq_f32_e32 vcc_lo, v2, v14
	s_waitcnt lgkmcnt(0)
	v_cmp_gt_i32_e64 s6, v4, v15
	v_cmp_lt_f32_e64 s7, v2, v14
	s_and_b32 s6, vcc_lo, s6
	s_or_b32 s6, s7, s6
	s_and_b32 exec_lo, exec_lo, s6
	s_cbranch_execz .LBB2_60
; %bb.59:                               ;   in Loop: Header=BB2_6 Depth=1
	ds_write_b32 v26, v14
	ds_write_b32 v25, v15
.LBB2_60:                               ;   in Loop: Header=BB2_6 Depth=1
	s_or_b32 exec_lo, exec_lo, s54
	s_and_saveexec_b32 s6, s0
	s_cbranch_execz .LBB2_62
; %bb.61:                               ;   in Loop: Header=BB2_6 Depth=1
	global_load_dword v2, v[8:9], off
	ds_read2st64_b32 v[14:15], v5 offset1:4
	s_waitcnt lgkmcnt(0)
	v_add_nc_u32_e32 v4, v14, v1
	s_waitcnt vmcnt(0)
	v_and_b32_e32 v14, 0x7fffffff, v2
	ds_write_b32 v5, v4 offset:2048
	ds_write_b64 v5, v[14:15] offset:2056
.LBB2_62:                               ;   in Loop: Header=BB2_6 Depth=1
	s_or_b32 exec_lo, exec_lo, s6
	s_waitcnt lgkmcnt(0)
	s_barrier
	buffer_gl0_inv
	ds_read_b64 v[14:15], v5 offset:2056
	v_add_nc_u32_e32 v38, 1, v1
	s_waitcnt lgkmcnt(0)
	v_cmp_lt_f32_e32 vcc_lo, v14, v15
	v_cndmask_b32_e32 v2, v14, v15, vcc_lo
	v_cmp_neq_f32_e32 vcc_lo, 0, v2
	s_cbranch_vccz .LBB2_80
; %bb.63:                               ;   in Loop: Header=BB2_6 Depth=1
	v_mul_f32_e32 v2, 0x3f23f07b, v15
	v_cmp_ge_f32_e32 vcc_lo, v14, v2
	s_cbranch_vccnz .LBB2_175
; %bb.64:                               ;   in Loop: Header=BB2_6 Depth=1
	ds_read_b32 v2, v5 offset:2048
	s_mov_b32 s7, exec_lo
	s_waitcnt lgkmcnt(0)
	v_sub_nc_u32_e32 v4, v2, v1
	v_cmpx_lt_i32_e64 v0, v4
	s_cbranch_execz .LBB2_67
; %bb.65:                               ;   in Loop: Header=BB2_6 Depth=1
	v_add_nc_u32_e32 v14, v0, v1
	v_mov_b32_e32 v18, v0
	s_mov_b32 s54, 0
	v_mad_u64_u32 v[15:16], null, v38, s22, v[14:15]
	v_mov_b32_e32 v16, v5
	v_lshlrev_b64 v[16:17], 2, v[15:16]
	v_mad_u64_u32 v[14:15], null, s21, v14, v[2:3]
	v_add_co_u32 v16, vcc_lo, s48, v16
	v_add_co_ci_u32_e64 v17, null, s49, v17, vcc_lo
	.p2align	6
.LBB2_66:                               ;   Parent Loop BB2_6 Depth=1
                                        ; =>  This Inner Loop Header: Depth=2
	v_ashrrev_i32_e32 v15, 31, v14
	v_add_nc_u32_e32 v18, 0x100, v18
	v_lshlrev_b64 v[19:20], 2, v[14:15]
	v_add_nc_u32_e32 v14, s10, v14
	v_add_co_u32 v19, vcc_lo, s20, v19
	v_add_co_ci_u32_e64 v20, null, s33, v20, vcc_lo
	v_cmp_ge_i32_e32 vcc_lo, v18, v4
	global_load_dword v15, v[19:20], off
	s_or_b32 s54, vcc_lo, s54
	s_waitcnt vmcnt(0)
	global_store_dword v[16:17], v15, off
	v_add_co_u32 v16, s6, 0x400, v16
	v_add_co_ci_u32_e64 v17, null, 0, v17, s6
	s_andn2_b32 exec_lo, exec_lo, s54
	s_cbranch_execnz .LBB2_66
.LBB2_67:                               ;   in Loop: Header=BB2_6 Depth=1
	s_or_b32 exec_lo, exec_lo, s7
	v_sub_nc_u32_e32 v4, s22, v2
	s_mov_b32 s6, exec_lo
                                        ; implicit-def: $vgpr14
	v_cmpx_ge_i32_e64 v0, v4
	s_xor_b32 s6, exec_lo, s6
; %bb.68:                               ;   in Loop: Header=BB2_6 Depth=1
	v_mul_lo_u32 v14, v38, s22
                                        ; implicit-def: $vgpr4
                                        ; implicit-def: $vgpr2
; %bb.69:                               ;   in Loop: Header=BB2_6 Depth=1
	s_andn2_saveexec_b32 s7, s6
	s_cbranch_execz .LBB2_73
; %bb.70:                               ;   in Loop: Header=BB2_6 Depth=1
	v_mul_lo_u32 v14, v38, s22
	v_mad_u64_u32 v[15:16], null, s45, v2, v[0:1]
	s_mov_b32 s54, 0
	v_add3_u32 v17, v0, v2, v14
	v_ashrrev_i32_e32 v16, 31, v15
	v_mov_b32_e32 v2, v0
	v_ashrrev_i32_e32 v18, 31, v17
	v_lshlrev_b64 v[15:16], 2, v[15:16]
	v_lshlrev_b64 v[17:18], 2, v[17:18]
	v_add_co_u32 v15, vcc_lo, s50, v15
	v_add_co_ci_u32_e64 v16, null, s51, v16, vcc_lo
	v_add_co_u32 v17, vcc_lo, s48, v17
	v_add_co_ci_u32_e64 v18, null, s49, v18, vcc_lo
	.p2align	6
.LBB2_71:                               ;   Parent Loop BB2_6 Depth=1
                                        ; =>  This Inner Loop Header: Depth=2
	global_load_dword v19, v[15:16], off
	v_add_nc_u32_e32 v2, 0x100, v2
	v_add_co_u32 v15, vcc_lo, 0x400, v15
	v_add_co_ci_u32_e64 v16, null, 0, v16, vcc_lo
	v_cmp_ge_i32_e32 vcc_lo, v2, v4
	s_or_b32 s54, vcc_lo, s54
	s_waitcnt vmcnt(0)
	global_store_dword v[17:18], v19, off
	v_add_co_u32 v17, s6, 0x400, v17
	v_add_co_ci_u32_e64 v18, null, 0, v18, s6
	s_andn2_b32 exec_lo, exec_lo, s54
	s_cbranch_execnz .LBB2_71
; %bb.72:                               ;   in Loop: Header=BB2_6 Depth=1
	s_or_b32 exec_lo, exec_lo, s54
.LBB2_73:                               ;   in Loop: Header=BB2_6 Depth=1
	s_or_b32 exec_lo, exec_lo, s7
	v_ashrrev_i32_e32 v15, 31, v14
	s_waitcnt_vscnt null, 0x0
	s_barrier
	buffer_gl0_inv
	s_and_saveexec_b32 s54, s5
	s_cbranch_execz .LBB2_81
; %bb.74:                               ;   in Loop: Header=BB2_6 Depth=1
	ds_read_b32 v18, v5 offset:2048
	v_lshlrev_b64 v[20:21], 2, v[14:15]
	v_add_co_u32 v16, s6, v27, v6
	v_add_co_ci_u32_e64 v17, null, v28, v7, s6
	v_mov_b32_e32 v4, v0
	v_add_co_u32 v2, s6, v12, v20
	v_add_co_ci_u32_e64 v40, null, v13, v21, s6
	s_mov_b32 s55, 0
	v_cmp_ne_u32_e32 vcc_lo, 0, v1
	s_waitcnt lgkmcnt(0)
	v_ashrrev_i32_e32 v19, 31, v18
	v_lshlrev_b64 v[18:19], 2, v[18:19]
	v_add_co_u32 v18, s6, s8, v18
	v_add_co_ci_u32_e64 v19, null, s9, v19, s6
	s_branch .LBB2_76
.LBB2_75:                               ;   in Loop: Header=BB2_76 Depth=2
	s_or_b32 exec_lo, exec_lo, s56
	v_lshlrev_b64 v[20:21], 2, v[4:5]
	v_add_nc_u32_e32 v4, 0x100, v4
	v_add_co_u32 v16, s7, 0x400, v16
	v_add_co_ci_u32_e64 v17, null, 0, v17, s7
	v_add_co_u32 v20, s6, v2, v20
	v_add_co_ci_u32_e64 v21, null, v40, v21, s6
	v_cmp_ge_i32_e64 s6, v4, v39
	global_load_dword v22, v[20:21], off
	s_or_b32 s55, s6, s55
	s_waitcnt vmcnt(0)
	v_sub_f32_e32 v22, v22, v41
	global_store_dword v[20:21], v22, off
	s_andn2_b32 exec_lo, exec_lo, s55
	s_cbranch_execz .LBB2_81
.LBB2_76:                               ;   Parent Loop BB2_6 Depth=1
                                        ; =>  This Loop Header: Depth=2
                                        ;       Child Loop BB2_78 Depth 3
	v_mov_b32_e32 v41, 0
	s_and_saveexec_b32 s56, vcc_lo
	s_cbranch_execz .LBB2_75
; %bb.77:                               ;   in Loop: Header=BB2_76 Depth=2
	v_mov_b32_e32 v21, v17
	v_mov_b32_e32 v23, v19
	;; [unrolled: 1-line block ×6, first 2 shown]
	s_mov_b32 s57, 0
	.p2align	6
.LBB2_78:                               ;   Parent Loop BB2_6 Depth=1
                                        ;     Parent Loop BB2_76 Depth=2
                                        ; =>    This Inner Loop Header: Depth=3
	global_load_dword v43, v[20:21], off
	global_load_dword v44, v[22:23], off
	v_add_nc_u32_e32 v42, -1, v42
	v_add_co_u32 v22, s6, v22, s12
	v_add_co_ci_u32_e64 v23, null, s13, v23, s6
	v_add_co_u32 v20, s6, v20, s36
	v_cmp_eq_u32_e64 s7, 0, v42
	v_add_co_ci_u32_e64 v21, null, s37, v21, s6
	s_or_b32 s57, s7, s57
	s_waitcnt vmcnt(0)
	v_fmac_f32_e32 v41, v43, v44
	s_andn2_b32 exec_lo, exec_lo, s57
	s_cbranch_execnz .LBB2_78
; %bb.79:                               ;   in Loop: Header=BB2_76 Depth=2
	s_or_b32 exec_lo, exec_lo, s57
	s_branch .LBB2_75
.LBB2_80:                               ;   in Loop: Header=BB2_6 Depth=1
                                        ; implicit-def: $sgpr7
                                        ; implicit-def: $vgpr2
                                        ; implicit-def: $vgpr4
	s_cbranch_execnz .LBB2_208
	s_branch .LBB2_211
.LBB2_81:                               ;   in Loop: Header=BB2_6 Depth=1
	s_or_b32 exec_lo, exec_lo, s54
	s_waitcnt_vscnt null, 0x0
	s_barrier
	buffer_gl0_inv
	ds_read_b32 v2, v5 offset:2048
	v_bfrev_b32_e32 v4, -2
	s_mov_b32 s7, exec_lo
	s_waitcnt lgkmcnt(0)
	v_sub_nc_u32_e32 v18, v2, v1
	v_mov_b32_e32 v2, 0
	v_cmpx_lt_i32_e64 v0, v18
	s_cbranch_execz .LBB2_85
; %bb.82:                               ;   in Loop: Header=BB2_6 Depth=1
	v_lshlrev_b64 v[16:17], 2, v[14:15]
	v_mov_b32_e32 v2, 0
	v_bfrev_b32_e32 v4, -2
	v_mov_b32_e32 v19, v0
	s_mov_b32 s54, 0
	v_add_co_u32 v16, vcc_lo, v16, v6
	v_add_co_ci_u32_e64 v17, null, v17, v7, vcc_lo
	v_add_co_u32 v16, vcc_lo, v30, v16
	v_add_co_ci_u32_e64 v17, null, v31, v17, vcc_lo
	.p2align	6
.LBB2_83:                               ;   Parent Loop BB2_6 Depth=1
                                        ; =>  This Inner Loop Header: Depth=2
	global_load_dword v20, v[16:17], off
	v_cmp_eq_u32_e32 vcc_lo, 0x7fffffff, v4
	v_add_nc_u32_e32 v21, 1, v19
	v_add_nc_u32_e32 v19, 0x100, v19
	v_add_co_u32 v16, s6, 0x400, v16
	v_add_co_ci_u32_e64 v17, null, 0, v17, s6
	v_cmp_ge_i32_e64 s6, v19, v18
	s_waitcnt vmcnt(0)
	v_cmp_lt_f32_e64 s55, v2, |v20|
	s_or_b32 vcc_lo, s55, vcc_lo
	s_or_b32 s54, s6, s54
	v_cndmask_b32_e64 v2, v2, |v20|, vcc_lo
	v_cndmask_b32_e32 v4, v4, v21, vcc_lo
	s_andn2_b32 exec_lo, exec_lo, s54
	s_cbranch_execnz .LBB2_83
; %bb.84:                               ;   in Loop: Header=BB2_6 Depth=1
	s_or_b32 exec_lo, exec_lo, s54
.LBB2_85:                               ;   in Loop: Header=BB2_6 Depth=1
	s_or_b32 exec_lo, exec_lo, s7
	s_mov_b32 s54, exec_lo
	ds_write_b32 v26, v2
	ds_write_b32 v25, v4
	s_waitcnt lgkmcnt(0)
	s_barrier
	buffer_gl0_inv
	v_cmpx_lt_i32_e32 1, v18
	s_cbranch_execz .LBB2_121
; %bb.86:                               ;   in Loop: Header=BB2_6 Depth=1
	s_and_saveexec_b32 s7, s1
	s_cbranch_execz .LBB2_92
; %bb.87:                               ;   in Loop: Header=BB2_6 Depth=1
	ds_read_b32 v16, v26 offset:512
	ds_read_b32 v17, v25 offset:512
	s_mov_b32 s56, exec_lo
	s_waitcnt lgkmcnt(1)
	v_cmp_lt_f32_e64 s55, v2, v16
	v_cmpx_nlt_f32_e32 v2, v16
	s_cbranch_execz .LBB2_89
; %bb.88:                               ;   in Loop: Header=BB2_6 Depth=1
	v_cmp_eq_f32_e32 vcc_lo, v2, v16
	s_waitcnt lgkmcnt(0)
	v_cmp_gt_i32_e64 s6, v4, v17
	s_andn2_b32 s55, s55, exec_lo
	s_and_b32 s6, vcc_lo, s6
	s_and_b32 s6, s6, exec_lo
	s_or_b32 s55, s55, s6
.LBB2_89:                               ;   in Loop: Header=BB2_6 Depth=1
	s_or_b32 exec_lo, exec_lo, s56
	s_and_saveexec_b32 s6, s55
	s_cbranch_execz .LBB2_91
; %bb.90:                               ;   in Loop: Header=BB2_6 Depth=1
	s_waitcnt lgkmcnt(0)
	v_mov_b32_e32 v4, v17
	v_mov_b32_e32 v2, v16
	ds_write_b32 v26, v16
	ds_write_b32 v25, v17
.LBB2_91:                               ;   in Loop: Header=BB2_6 Depth=1
	s_or_b32 exec_lo, exec_lo, s6
.LBB2_92:                               ;   in Loop: Header=BB2_6 Depth=1
	s_or_b32 exec_lo, exec_lo, s7
	s_waitcnt lgkmcnt(0)
	s_barrier
	buffer_gl0_inv
	s_and_saveexec_b32 s7, s2
	s_cbranch_execz .LBB2_98
; %bb.93:                               ;   in Loop: Header=BB2_6 Depth=1
	ds_read_b32 v16, v26 offset:256
	ds_read_b32 v17, v25 offset:256
	s_mov_b32 s56, exec_lo
	s_waitcnt lgkmcnt(1)
	v_cmp_lt_f32_e64 s55, v2, v16
	v_cmpx_nlt_f32_e32 v2, v16
	s_cbranch_execz .LBB2_95
; %bb.94:                               ;   in Loop: Header=BB2_6 Depth=1
	v_cmp_eq_f32_e32 vcc_lo, v2, v16
	s_waitcnt lgkmcnt(0)
	v_cmp_gt_i32_e64 s6, v4, v17
	s_andn2_b32 s55, s55, exec_lo
	s_and_b32 s6, vcc_lo, s6
	s_and_b32 s6, s6, exec_lo
	s_or_b32 s55, s55, s6
.LBB2_95:                               ;   in Loop: Header=BB2_6 Depth=1
	s_or_b32 exec_lo, exec_lo, s56
	s_and_saveexec_b32 s6, s55
	s_cbranch_execz .LBB2_97
; %bb.96:                               ;   in Loop: Header=BB2_6 Depth=1
	s_waitcnt lgkmcnt(0)
	v_mov_b32_e32 v4, v17
	v_mov_b32_e32 v2, v16
	ds_write_b32 v26, v16
	ds_write_b32 v25, v17
.LBB2_97:                               ;   in Loop: Header=BB2_6 Depth=1
	s_or_b32 exec_lo, exec_lo, s6
.LBB2_98:                               ;   in Loop: Header=BB2_6 Depth=1
	s_or_b32 exec_lo, exec_lo, s7
	s_waitcnt lgkmcnt(0)
	s_barrier
	buffer_gl0_inv
	s_and_b32 exec_lo, exec_lo, s3
	s_cbranch_execz .LBB2_121
; %bb.99:                               ;   in Loop: Header=BB2_6 Depth=1
	ds_read_b32 v16, v26 offset:128
	ds_read_b32 v17, v25 offset:128
	s_mov_b32 s55, exec_lo
	s_waitcnt lgkmcnt(1)
	v_cmp_lt_f32_e64 s7, v2, v16
	v_cmpx_nlt_f32_e32 v2, v16
	s_cbranch_execz .LBB2_101
; %bb.100:                              ;   in Loop: Header=BB2_6 Depth=1
	v_cmp_eq_f32_e32 vcc_lo, v2, v16
	s_waitcnt lgkmcnt(0)
	v_cmp_gt_i32_e64 s6, v4, v17
	s_andn2_b32 s7, s7, exec_lo
	s_and_b32 s6, vcc_lo, s6
	s_and_b32 s6, s6, exec_lo
	s_or_b32 s7, s7, s6
.LBB2_101:                              ;   in Loop: Header=BB2_6 Depth=1
	s_or_b32 exec_lo, exec_lo, s55
	s_and_saveexec_b32 s6, s7
	s_cbranch_execz .LBB2_103
; %bb.102:                              ;   in Loop: Header=BB2_6 Depth=1
	v_mov_b32_e32 v2, v16
	s_waitcnt lgkmcnt(0)
	v_mov_b32_e32 v4, v17
	ds_write_b32 v26, v16
	ds_write_b32 v25, v17
.LBB2_103:                              ;   in Loop: Header=BB2_6 Depth=1
	s_or_b32 exec_lo, exec_lo, s6
	ds_read_b32 v16, v26 offset:64
	s_waitcnt lgkmcnt(1)
	ds_read_b32 v17, v25 offset:64
	s_mov_b32 s55, exec_lo
	s_waitcnt lgkmcnt(1)
	v_cmp_lt_f32_e64 s7, v2, v16
	v_cmpx_nlt_f32_e32 v2, v16
	s_cbranch_execz .LBB2_105
; %bb.104:                              ;   in Loop: Header=BB2_6 Depth=1
	v_cmp_eq_f32_e32 vcc_lo, v2, v16
	s_waitcnt lgkmcnt(0)
	v_cmp_gt_i32_e64 s6, v4, v17
	s_andn2_b32 s7, s7, exec_lo
	s_and_b32 s6, vcc_lo, s6
	s_and_b32 s6, s6, exec_lo
	s_or_b32 s7, s7, s6
.LBB2_105:                              ;   in Loop: Header=BB2_6 Depth=1
	s_or_b32 exec_lo, exec_lo, s55
	s_and_saveexec_b32 s6, s7
	s_cbranch_execz .LBB2_107
; %bb.106:                              ;   in Loop: Header=BB2_6 Depth=1
	v_mov_b32_e32 v2, v16
	s_waitcnt lgkmcnt(0)
	v_mov_b32_e32 v4, v17
	ds_write_b32 v26, v16
	ds_write_b32 v25, v17
.LBB2_107:                              ;   in Loop: Header=BB2_6 Depth=1
	s_or_b32 exec_lo, exec_lo, s6
	ds_read_b32 v16, v26 offset:32
	s_waitcnt lgkmcnt(1)
	;; [unrolled: 28-line block ×5, first 2 shown]
	ds_read_b32 v17, v25 offset:4
	s_waitcnt lgkmcnt(1)
	v_cmp_eq_f32_e32 vcc_lo, v2, v16
	s_waitcnt lgkmcnt(0)
	v_cmp_gt_i32_e64 s6, v4, v17
	v_cmp_lt_f32_e64 s7, v2, v16
	s_and_b32 s6, vcc_lo, s6
	s_or_b32 s6, s7, s6
	s_and_b32 exec_lo, exec_lo, s6
	s_cbranch_execz .LBB2_121
; %bb.120:                              ;   in Loop: Header=BB2_6 Depth=1
	ds_write_b32 v26, v16
	ds_write_b32 v25, v17
.LBB2_121:                              ;   in Loop: Header=BB2_6 Depth=1
	s_or_b32 exec_lo, exec_lo, s54
	s_and_saveexec_b32 s6, s0
	s_cbranch_execz .LBB2_123
; %bb.122:                              ;   in Loop: Header=BB2_6 Depth=1
	ds_read_b32 v2, v5 offset:1024
	s_waitcnt lgkmcnt(0)
	ds_write_b32 v5, v2 offset:2064
.LBB2_123:                              ;   in Loop: Header=BB2_6 Depth=1
	s_or_b32 exec_lo, exec_lo, s6
	ds_read_b32 v2, v5 offset:2048
	s_waitcnt lgkmcnt(0)
	v_cmp_le_i32_e32 vcc_lo, s44, v2
	v_readfirstlane_b32 s6, v2
	s_cbranch_vccnz .LBB2_168
; %bb.124:                              ;   in Loop: Header=BB2_6 Depth=1
	v_mov_b32_e32 v2, 0
	v_bfrev_b32_e32 v4, -2
	s_not_b32 s7, s6
	s_mov_b32 s55, exec_lo
	s_add_i32 s54, s22, s7
	v_cmpx_gt_i32_e64 s54, v0
	s_cbranch_execz .LBB2_128
; %bb.125:                              ;   in Loop: Header=BB2_6 Depth=1
	v_lshlrev_b64 v[15:16], 2, v[14:15]
	s_ashr_i32 s7, s6, 31
	v_mov_b32_e32 v2, 0
	s_lshl_b64 s[6:7], s[6:7], 2
	v_mov_b32_e32 v17, v0
	v_add_co_u32 v4, vcc_lo, s6, v15
	v_add_co_ci_u32_e64 v16, null, s7, v16, vcc_lo
	s_mov_b32 s7, 0
	v_add_co_u32 v15, vcc_lo, v32, v4
	v_add_co_ci_u32_e64 v16, null, v33, v16, vcc_lo
	v_bfrev_b32_e32 v4, -2
	.p2align	6
.LBB2_126:                              ;   Parent Loop BB2_6 Depth=1
                                        ; =>  This Inner Loop Header: Depth=2
	global_load_dword v18, v[15:16], off
	v_cmp_eq_u32_e32 vcc_lo, 0x7fffffff, v4
	v_add_nc_u32_e32 v19, 1, v17
	v_add_nc_u32_e32 v17, 0x100, v17
	v_add_co_u32 v15, s6, 0x400, v15
	v_add_co_ci_u32_e64 v16, null, 0, v16, s6
	v_cmp_le_i32_e64 s6, s54, v17
	s_waitcnt vmcnt(0)
	v_cmp_lt_f32_e64 s56, v2, |v18|
	s_or_b32 vcc_lo, s56, vcc_lo
	s_or_b32 s7, s6, s7
	v_cndmask_b32_e64 v2, v2, |v18|, vcc_lo
	v_cndmask_b32_e32 v4, v4, v19, vcc_lo
	s_andn2_b32 exec_lo, exec_lo, s7
	s_cbranch_execnz .LBB2_126
; %bb.127:                              ;   in Loop: Header=BB2_6 Depth=1
	s_or_b32 exec_lo, exec_lo, s7
.LBB2_128:                              ;   in Loop: Header=BB2_6 Depth=1
	s_or_b32 exec_lo, exec_lo, s55
	s_cmp_lt_i32 s54, 2
	ds_write_b32 v26, v2
	ds_write_b32 v25, v4
	s_waitcnt lgkmcnt(0)
	s_barrier
	buffer_gl0_inv
	s_cbranch_scc1 .LBB2_165
; %bb.129:                              ;   in Loop: Header=BB2_6 Depth=1
	s_and_saveexec_b32 s7, s1
	s_cbranch_execz .LBB2_135
; %bb.130:                              ;   in Loop: Header=BB2_6 Depth=1
	ds_read_b32 v15, v26 offset:512
	ds_read_b32 v16, v25 offset:512
	s_mov_b32 s55, exec_lo
	s_waitcnt lgkmcnt(1)
	v_cmp_lt_f32_e64 s54, v2, v15
	v_cmpx_nlt_f32_e32 v2, v15
	s_cbranch_execz .LBB2_132
; %bb.131:                              ;   in Loop: Header=BB2_6 Depth=1
	v_cmp_eq_f32_e32 vcc_lo, v2, v15
	s_waitcnt lgkmcnt(0)
	v_cmp_gt_i32_e64 s6, v4, v16
	s_andn2_b32 s54, s54, exec_lo
	s_and_b32 s6, vcc_lo, s6
	s_and_b32 s6, s6, exec_lo
	s_or_b32 s54, s54, s6
.LBB2_132:                              ;   in Loop: Header=BB2_6 Depth=1
	s_or_b32 exec_lo, exec_lo, s55
	s_and_saveexec_b32 s6, s54
	s_cbranch_execz .LBB2_134
; %bb.133:                              ;   in Loop: Header=BB2_6 Depth=1
	s_waitcnt lgkmcnt(0)
	v_mov_b32_e32 v4, v16
	v_mov_b32_e32 v2, v15
	ds_write_b32 v26, v15
	ds_write_b32 v25, v16
.LBB2_134:                              ;   in Loop: Header=BB2_6 Depth=1
	s_or_b32 exec_lo, exec_lo, s6
.LBB2_135:                              ;   in Loop: Header=BB2_6 Depth=1
	s_or_b32 exec_lo, exec_lo, s7
	s_waitcnt lgkmcnt(0)
	s_barrier
	buffer_gl0_inv
	s_and_saveexec_b32 s7, s2
	s_cbranch_execz .LBB2_141
; %bb.136:                              ;   in Loop: Header=BB2_6 Depth=1
	ds_read_b32 v15, v26 offset:256
	ds_read_b32 v16, v25 offset:256
	s_mov_b32 s55, exec_lo
	s_waitcnt lgkmcnt(1)
	v_cmp_lt_f32_e64 s54, v2, v15
	v_cmpx_nlt_f32_e32 v2, v15
	s_cbranch_execz .LBB2_138
; %bb.137:                              ;   in Loop: Header=BB2_6 Depth=1
	v_cmp_eq_f32_e32 vcc_lo, v2, v15
	s_waitcnt lgkmcnt(0)
	v_cmp_gt_i32_e64 s6, v4, v16
	s_andn2_b32 s54, s54, exec_lo
	s_and_b32 s6, vcc_lo, s6
	s_and_b32 s6, s6, exec_lo
	s_or_b32 s54, s54, s6
.LBB2_138:                              ;   in Loop: Header=BB2_6 Depth=1
	s_or_b32 exec_lo, exec_lo, s55
	s_and_saveexec_b32 s6, s54
	s_cbranch_execz .LBB2_140
; %bb.139:                              ;   in Loop: Header=BB2_6 Depth=1
	s_waitcnt lgkmcnt(0)
	v_mov_b32_e32 v4, v16
	v_mov_b32_e32 v2, v15
	ds_write_b32 v26, v15
	ds_write_b32 v25, v16
.LBB2_140:                              ;   in Loop: Header=BB2_6 Depth=1
	s_or_b32 exec_lo, exec_lo, s6
.LBB2_141:                              ;   in Loop: Header=BB2_6 Depth=1
	s_or_b32 exec_lo, exec_lo, s7
	s_waitcnt lgkmcnt(0)
	s_barrier
	buffer_gl0_inv
	s_and_saveexec_b32 s54, s3
	s_cbranch_execz .LBB2_164
; %bb.142:                              ;   in Loop: Header=BB2_6 Depth=1
	ds_read_b32 v15, v26 offset:128
	ds_read_b32 v16, v25 offset:128
	s_mov_b32 s55, exec_lo
	s_waitcnt lgkmcnt(1)
	v_cmp_lt_f32_e64 s7, v2, v15
	v_cmpx_nlt_f32_e32 v2, v15
	s_cbranch_execz .LBB2_144
; %bb.143:                              ;   in Loop: Header=BB2_6 Depth=1
	v_cmp_eq_f32_e32 vcc_lo, v2, v15
	s_waitcnt lgkmcnt(0)
	v_cmp_gt_i32_e64 s6, v4, v16
	s_andn2_b32 s7, s7, exec_lo
	s_and_b32 s6, vcc_lo, s6
	s_and_b32 s6, s6, exec_lo
	s_or_b32 s7, s7, s6
.LBB2_144:                              ;   in Loop: Header=BB2_6 Depth=1
	s_or_b32 exec_lo, exec_lo, s55
	s_and_saveexec_b32 s6, s7
	s_cbranch_execz .LBB2_146
; %bb.145:                              ;   in Loop: Header=BB2_6 Depth=1
	v_mov_b32_e32 v2, v15
	s_waitcnt lgkmcnt(0)
	v_mov_b32_e32 v4, v16
	ds_write_b32 v26, v15
	ds_write_b32 v25, v16
.LBB2_146:                              ;   in Loop: Header=BB2_6 Depth=1
	s_or_b32 exec_lo, exec_lo, s6
	ds_read_b32 v15, v26 offset:64
	s_waitcnt lgkmcnt(1)
	ds_read_b32 v16, v25 offset:64
	s_mov_b32 s55, exec_lo
	s_waitcnt lgkmcnt(1)
	v_cmp_lt_f32_e64 s7, v2, v15
	v_cmpx_nlt_f32_e32 v2, v15
	s_cbranch_execz .LBB2_148
; %bb.147:                              ;   in Loop: Header=BB2_6 Depth=1
	v_cmp_eq_f32_e32 vcc_lo, v2, v15
	s_waitcnt lgkmcnt(0)
	v_cmp_gt_i32_e64 s6, v4, v16
	s_andn2_b32 s7, s7, exec_lo
	s_and_b32 s6, vcc_lo, s6
	s_and_b32 s6, s6, exec_lo
	s_or_b32 s7, s7, s6
.LBB2_148:                              ;   in Loop: Header=BB2_6 Depth=1
	s_or_b32 exec_lo, exec_lo, s55
	s_and_saveexec_b32 s6, s7
	s_cbranch_execz .LBB2_150
; %bb.149:                              ;   in Loop: Header=BB2_6 Depth=1
	v_mov_b32_e32 v2, v15
	s_waitcnt lgkmcnt(0)
	v_mov_b32_e32 v4, v16
	ds_write_b32 v26, v15
	ds_write_b32 v25, v16
.LBB2_150:                              ;   in Loop: Header=BB2_6 Depth=1
	s_or_b32 exec_lo, exec_lo, s6
	ds_read_b32 v15, v26 offset:32
	s_waitcnt lgkmcnt(1)
	;; [unrolled: 28-line block ×5, first 2 shown]
	ds_read_b32 v16, v25 offset:4
	s_waitcnt lgkmcnt(1)
	v_cmp_eq_f32_e32 vcc_lo, v2, v15
	s_waitcnt lgkmcnt(0)
	v_cmp_gt_i32_e64 s6, v4, v16
	v_cmp_lt_f32_e64 s7, v2, v15
	s_and_b32 s6, vcc_lo, s6
	s_or_b32 s6, s7, s6
	s_and_b32 exec_lo, exec_lo, s6
	s_cbranch_execz .LBB2_164
; %bb.163:                              ;   in Loop: Header=BB2_6 Depth=1
	ds_write_b32 v26, v15
	ds_write_b32 v25, v16
.LBB2_164:                              ;   in Loop: Header=BB2_6 Depth=1
	s_or_b32 exec_lo, exec_lo, s54
.LBB2_165:                              ;   in Loop: Header=BB2_6 Depth=1
	s_and_saveexec_b32 s6, s0
	s_cbranch_execz .LBB2_167
; %bb.166:                              ;   in Loop: Header=BB2_6 Depth=1
	ds_read_b32 v2, v5 offset:2064
	ds_read_b32 v4, v5 offset:1024
	s_waitcnt lgkmcnt(0)
	v_cmp_lt_f32_e32 vcc_lo, v2, v4
	v_cndmask_b32_e32 v2, v2, v4, vcc_lo
	ds_write_b32 v5, v2 offset:2064
.LBB2_167:                              ;   in Loop: Header=BB2_6 Depth=1
	s_or_b32 exec_lo, exec_lo, s6
.LBB2_168:                              ;   in Loop: Header=BB2_6 Depth=1
	s_waitcnt lgkmcnt(0)
	s_barrier
	buffer_gl0_inv
	ds_read_b64 v[15:16], v5 offset:2056
	ds_read_b32 v4, v5 offset:2064
	s_waitcnt lgkmcnt(0)
	v_div_scale_f32 v2, null, v4, v4, v16
	v_rcp_f32_e32 v17, v2
	v_fma_f32 v18, -v2, v17, 1.0
	v_fmac_f32_e32 v17, v18, v17
	v_div_scale_f32 v18, vcc_lo, v16, v4, v16
	v_mul_f32_e32 v19, v18, v17
	v_fma_f32 v20, -v2, v19, v18
	v_fmac_f32_e32 v19, v20, v17
	v_fma_f32 v2, -v2, v19, v18
	v_div_fmas_f32 v2, v2, v17, v19
	v_mul_f32_e32 v17, 0x3f23f07b, v16
	v_div_fixup_f32 v2, v2, v4, v16
	v_mul_f32_e32 v2, v17, v2
	v_cmp_ge_f32_e32 vcc_lo, v15, v2
	s_cbranch_vccnz .LBB2_175
; %bb.169:                              ;   in Loop: Header=BB2_6 Depth=1
	ds_read_b32 v2, v5 offset:2048
	v_mul_f32_e32 v4, 0x3f23f07b, v4
	v_mov_b32_e32 v18, 2
	s_mov_b32 s54, 0
	s_mov_b32 s6, exec_lo
	s_waitcnt lgkmcnt(0)
	v_add_nc_u32_e32 v15, v2, v14
	v_ashrrev_i32_e32 v16, 31, v15
	v_lshlrev_b64 v[15:16], 2, v[15:16]
	v_add_co_u32 v15, vcc_lo, s8, v15
	v_add_co_ci_u32_e64 v16, null, s9, v16, vcc_lo
	global_load_dword v15, v[15:16], off
	s_waitcnt vmcnt(0)
	v_cmpx_ge_f32_e64 |v15|, v4
	s_cbranch_execz .LBB2_174
; %bb.170:                              ;   in Loop: Header=BB2_6 Depth=1
	s_and_saveexec_b32 s7, s5
	s_cbranch_execz .LBB2_173
; %bb.171:                              ;   in Loop: Header=BB2_6 Depth=1
	v_mad_u64_u32 v[16:17], null, s47, v1, v[0:1]
	v_add3_u32 v14, v0, v1, v14
	v_mov_b32_e32 v4, v0
	v_ashrrev_i32_e32 v15, 31, v14
	v_ashrrev_i32_e32 v17, 31, v16
	v_lshlrev_b64 v[14:15], 2, v[14:15]
	v_lshlrev_b64 v[16:17], 2, v[16:17]
	v_add_co_u32 v14, vcc_lo, s48, v14
	v_add_co_ci_u32_e64 v15, null, s49, v15, vcc_lo
	v_add_co_u32 v16, vcc_lo, s48, v16
	v_add_co_ci_u32_e64 v17, null, s49, v17, vcc_lo
	.p2align	6
.LBB2_172:                              ;   Parent Loop BB2_6 Depth=1
                                        ; =>  This Inner Loop Header: Depth=2
	global_load_dword v18, v[14:15], off
	v_add_nc_u32_e32 v4, 0x100, v4
	v_add_co_u32 v14, vcc_lo, 0x400, v14
	v_add_co_ci_u32_e64 v15, null, 0, v15, vcc_lo
	v_cmp_ge_i32_e32 vcc_lo, v4, v39
	s_or_b32 s54, vcc_lo, s54
	s_waitcnt vmcnt(0)
	global_store_dword v[16:17], v18, off
	v_add_co_u32 v16, s5, 0x400, v16
	v_add_co_ci_u32_e64 v17, null, 0, v17, s5
	s_andn2_b32 exec_lo, exec_lo, s54
	s_cbranch_execnz .LBB2_172
.LBB2_173:                              ;   in Loop: Header=BB2_6 Depth=1
	s_or_b32 exec_lo, exec_lo, s7
	v_mov_b32_e32 v18, 1
	s_mov_b32 s54, exec_lo
	s_waitcnt_vscnt null, 0x0
	s_barrier
	buffer_gl0_inv
.LBB2_174:                              ;   in Loop: Header=BB2_6 Depth=1
	s_or_b32 exec_lo, exec_lo, s6
	s_branch .LBB2_176
.LBB2_175:                              ;   in Loop: Header=BB2_6 Depth=1
	v_mov_b32_e32 v18, 1
	v_mov_b32_e32 v2, v1
	s_mov_b32 s54, -1
.LBB2_176:                              ;   in Loop: Header=BB2_6 Depth=1
	v_add_nc_u32_e32 v4, v18, v1
	s_mov_b32 s55, exec_lo
	v_add_nc_u32_e32 v19, -1, v4
	v_cmpx_ne_u32_e64 v2, v19
	s_cbranch_execz .LBB2_192
; %bb.177:                              ;   in Loop: Header=BB2_6 Depth=1
	s_and_saveexec_b32 s5, s0
	s_cbranch_execz .LBB2_179
; %bb.178:                              ;   in Loop: Header=BB2_6 Depth=1
	v_mul_lo_u32 v14, v19, s45
	v_ashrrev_i32_e32 v15, 31, v14
	v_lshlrev_b64 v[14:15], 2, v[14:15]
	v_add_co_u32 v14, vcc_lo, s20, v14
	v_add_co_ci_u32_e64 v15, null, s33, v15, vcc_lo
	global_load_dword v16, v[14:15], off
	v_mul_lo_u32 v14, v2, s45
	v_ashrrev_i32_e32 v15, 31, v14
	v_lshlrev_b64 v[14:15], 2, v[14:15]
	v_add_co_u32 v14, vcc_lo, s20, v14
	v_add_co_ci_u32_e64 v15, null, s33, v15, vcc_lo
	s_waitcnt vmcnt(0)
	global_store_dword v[14:15], v16, off
.LBB2_179:                              ;   in Loop: Header=BB2_6 Depth=1
	s_or_b32 exec_lo, exec_lo, s5
	v_sub_nc_u32_e32 v20, v2, v4
	s_mov_b32 s6, exec_lo
	v_cmpx_lt_i32_e64 v0, v20
	s_cbranch_execz .LBB2_182
; %bb.180:                              ;   in Loop: Header=BB2_6 Depth=1
	v_add3_u32 v14, v0, v18, v1
	v_mad_u64_u32 v[16:17], null, v19, s21, v[4:5]
	v_mov_b32_e32 v17, v0
	s_mov_b32 s7, 0
	v_mad_u64_u32 v[14:15], null, s21, v14, v[2:3]
	.p2align	6
.LBB2_181:                              ;   Parent Loop BB2_6 Depth=1
                                        ; =>  This Inner Loop Header: Depth=2
	v_add_nc_u32_e32 v21, v16, v17
	v_ashrrev_i32_e32 v15, 31, v14
	v_add_nc_u32_e32 v17, 0x100, v17
	v_ashrrev_i32_e32 v22, 31, v21
	v_lshlrev_b64 v[21:22], 2, v[21:22]
	v_add_co_u32 v21, vcc_lo, s20, v21
	v_add_co_ci_u32_e64 v22, null, s33, v22, vcc_lo
	v_cmp_ge_i32_e32 vcc_lo, v17, v20
	global_load_dword v23, v[21:22], off
	v_lshlrev_b64 v[21:22], 2, v[14:15]
	v_add_nc_u32_e32 v14, s10, v14
	s_or_b32 s7, vcc_lo, s7
	v_add_co_u32 v21, s5, s20, v21
	v_add_co_ci_u32_e64 v22, null, s33, v22, s5
	s_waitcnt vmcnt(0)
	global_store_dword v[21:22], v23, off
	s_andn2_b32 exec_lo, exec_lo, s7
	s_cbranch_execnz .LBB2_181
.LBB2_182:                              ;   in Loop: Header=BB2_6 Depth=1
	s_or_b32 exec_lo, exec_lo, s6
	v_xad_u32 v16, v2, -1, s22
	s_mov_b32 s6, exec_lo
	v_cmpx_lt_i32_e64 v0, v16
	s_cbranch_execz .LBB2_185
; %bb.183:                              ;   in Loop: Header=BB2_6 Depth=1
	v_mul_lo_u32 v17, v19, s21
	v_mad_u64_u32 v[14:15], null, s45, v2, 1
	s_mov_b32 s7, 0
	v_add3_u32 v15, v2, v17, 1
	v_mov_b32_e32 v17, v0
	.p2align	6
.LBB2_184:                              ;   Parent Loop BB2_6 Depth=1
                                        ; =>  This Inner Loop Header: Depth=2
	v_add_nc_u32_e32 v19, v15, v17
	v_ashrrev_i32_e32 v20, 31, v19
	v_lshlrev_b64 v[19:20], 2, v[19:20]
	v_add_co_u32 v19, vcc_lo, s20, v19
	v_add_co_ci_u32_e64 v20, null, s33, v20, vcc_lo
	global_load_dword v21, v[19:20], off
	v_add_nc_u32_e32 v19, v14, v17
	v_add_nc_u32_e32 v17, 0x100, v17
	v_ashrrev_i32_e32 v20, 31, v19
	v_cmp_ge_i32_e32 vcc_lo, v17, v16
	v_lshlrev_b64 v[19:20], 2, v[19:20]
	s_or_b32 s7, vcc_lo, s7
	v_add_co_u32 v19, s5, s20, v19
	v_add_co_ci_u32_e64 v20, null, s33, v20, s5
	s_waitcnt vmcnt(0)
	global_store_dword v[19:20], v21, off
	s_andn2_b32 exec_lo, exec_lo, s7
	s_cbranch_execnz .LBB2_184
.LBB2_185:                              ;   in Loop: Header=BB2_6 Depth=1
	s_or_b32 exec_lo, exec_lo, s6
	s_mov_b32 s5, exec_lo
	s_waitcnt_vscnt null, 0x0
	s_barrier
	buffer_gl0_inv
	v_cmpx_lt_u32_e64 v0, v1
	s_cbranch_execz .LBB2_188
; %bb.186:                              ;   in Loop: Header=BB2_6 Depth=1
	v_ashrrev_i32_e32 v14, 31, v4
	v_mov_b32_e32 v15, v34
	v_mov_b32_e32 v16, v0
	s_mov_b32 s6, 0
	s_inst_prefetch 0x1
	.p2align	6
.LBB2_187:                              ;   Parent Loop BB2_6 Depth=1
                                        ; =>  This Inner Loop Header: Depth=2
	v_add_nc_u32_e32 v19, v2, v15
	v_ashrrev_i32_e32 v17, 31, v15
	v_add_co_u32 v21, vcc_lo, v15, v4
	v_add_nc_u32_e32 v16, 0x100, v16
	v_ashrrev_i32_e32 v20, 31, v19
	v_add_co_ci_u32_e64 v22, null, v17, v14, vcc_lo
	v_add_nc_u32_e32 v15, s10, v15
	v_lshlrev_b64 v[19:20], 2, v[19:20]
	v_lshlrev_b64 v[21:22], 2, v[21:22]
	v_add_co_u32 v19, vcc_lo, s20, v19
	v_add_co_ci_u32_e64 v20, null, s33, v20, vcc_lo
	v_add_co_u32 v21, vcc_lo, s20, v21
	v_add_co_ci_u32_e64 v22, null, s33, v22, vcc_lo
	s_clause 0x1
	global_load_dword v17, v[19:20], off
	global_load_dword v23, v[21:22], off offset:-4
	v_cmp_ge_u32_e32 vcc_lo, v16, v1
	s_waitcnt vmcnt(1)
	global_store_dword v[21:22], v17, off offset:-4
	s_waitcnt vmcnt(0)
	global_store_dword v[19:20], v23, off
	s_or_b32 s6, vcc_lo, s6
	s_andn2_b32 exec_lo, exec_lo, s6
	s_cbranch_execnz .LBB2_187
.LBB2_188:                              ;   in Loop: Header=BB2_6 Depth=1
	s_inst_prefetch 0x2
	s_or_b32 exec_lo, exec_lo, s5
	v_cmp_lt_u32_e32 vcc_lo, v0, v4
	s_and_b32 exec_lo, exec_lo, vcc_lo
	s_cbranch_execz .LBB2_191
; %bb.189:                              ;   in Loop: Header=BB2_6 Depth=1
	v_add_co_u32 v15, vcc_lo, v29, v18
	v_add_co_ci_u32_e64 v17, null, 0, v35, vcc_lo
	v_add_nc_u32_e32 v14, v29, v2
	v_add_co_u32 v16, vcc_lo, v15, v1
	v_add_co_ci_u32_e64 v17, null, 0, v17, vcc_lo
	v_ashrrev_i32_e32 v15, 31, v14
	v_mov_b32_e32 v18, v0
	s_mov_b32 s5, 0
	v_lshlrev_b64 v[16:17], 2, v[16:17]
	s_mov_b64 s[6:7], s[8:9]
	v_lshlrev_b64 v[14:15], 2, v[14:15]
	v_add_co_u32 v16, vcc_lo, v16, -4
	v_add_co_ci_u32_e64 v17, null, -1, v17, vcc_lo
	.p2align	6
.LBB2_190:                              ;   Parent Loop BB2_6 Depth=1
                                        ; =>  This Inner Loop Header: Depth=2
	v_add_co_u32 v19, vcc_lo, s6, v14
	v_add_co_ci_u32_e64 v20, null, s7, v15, vcc_lo
	v_add_co_u32 v21, vcc_lo, s6, v16
	v_add_co_ci_u32_e64 v22, null, s7, v17, vcc_lo
	s_clause 0x1
	global_load_dword v23, v[19:20], off
	global_load_dword v39, v[21:22], off
	v_add_nc_u32_e32 v18, 0x100, v18
	s_add_u32 s6, s6, s38
	s_addc_u32 s7, s7, s39
	s_waitcnt vmcnt(1)
	global_store_dword v[21:22], v23, off
	s_waitcnt vmcnt(0)
	global_store_dword v[19:20], v39, off
	v_cmp_ge_u32_e32 vcc_lo, v18, v4
	s_or_b32 s5, vcc_lo, s5
	s_andn2_b32 exec_lo, exec_lo, s5
	s_cbranch_execnz .LBB2_190
.LBB2_191:                              ;   in Loop: Header=BB2_6 Depth=1
	s_waitcnt_vscnt null, 0x0
	s_barrier
	buffer_gl0_inv
.LBB2_192:                              ;   in Loop: Header=BB2_6 Depth=1
	s_or_b32 exec_lo, exec_lo, s55
	s_xor_b32 s5, s54, -1
	s_and_saveexec_b32 s6, s5
	s_xor_b32 s6, exec_lo, s6
	s_cbranch_execz .LBB2_200
; %bb.193:                              ;   in Loop: Header=BB2_6 Depth=1
	s_mov_b32 s7, exec_lo
	v_cmpx_gt_i32_e64 s46, v1
	s_cbranch_execz .LBB2_197
; %bb.194:                              ;   in Loop: Header=BB2_6 Depth=1
	v_add_nc_u32_e32 v18, v1, v3
	v_cmp_gt_i32_e32 vcc_lo, s22, v18
	s_and_b32 exec_lo, exec_lo, vcc_lo
	s_cbranch_execz .LBB2_197
; %bb.195:                              ;   in Loop: Header=BB2_6 Depth=1
	v_mul_lo_u32 v4, v38, s22
	s_mov_b32 s54, 0
	v_lshlrev_b64 v[10:11], 2, v[4:5]
	v_add_co_u32 v10, vcc_lo, v12, v10
	v_add_co_ci_u32_e64 v11, null, v13, v11, vcc_lo
	s_clause 0x1
	global_load_dwordx2 v[12:13], v[8:9], off
	global_load_dword v10, v[10:11], off offset:4
	s_waitcnt vmcnt(1)
	v_div_scale_f32 v14, null, v13, v13, v12
	s_waitcnt vmcnt(0)
	v_div_scale_f32 v11, null, v13, v13, v10
	v_div_scale_f32 v20, vcc_lo, v10, v13, v10
	v_rcp_f32_e32 v16, v14
	v_rcp_f32_e32 v15, v11
	v_fma_f32 v19, -v14, v16, 1.0
	v_fma_f32 v17, -v11, v15, 1.0
	v_fmac_f32_e32 v16, v19, v16
	v_fmac_f32_e32 v15, v17, v15
	v_div_scale_f32 v17, s5, v12, v13, v12
	v_mul_f32_e32 v19, v20, v15
	v_mul_f32_e32 v21, v17, v16
	v_fma_f32 v22, -v11, v19, v20
	v_fma_f32 v23, -v14, v21, v17
	v_fmac_f32_e32 v19, v22, v15
	v_fmac_f32_e32 v21, v23, v16
	v_fma_f32 v11, -v11, v19, v20
	v_fma_f32 v14, -v14, v21, v17
	v_div_fmas_f32 v11, v11, v15, v19
	s_mov_b32 vcc_lo, s5
	v_div_fmas_f32 v14, v14, v16, v21
	v_div_fixup_f32 v19, v11, v13, v10
	v_div_fixup_f32 v20, v14, v13, v12
	v_mad_u64_u32 v[11:12], null, s47, v1, v[3:4]
	v_add_nc_u32_e32 v4, v18, v4
	v_fma_f32 v10, v19, v20, -1.0
	v_ashrrev_i32_e32 v12, 31, v11
	v_mul_f32_e32 v17, v13, v10
	v_lshlrev_b64 v[21:22], 2, v[11:12]
	v_div_scale_f32 v23, null, v17, v17, 1.0
	v_div_scale_f32 v41, vcc_lo, 1.0, v17, 1.0
	v_rcp_f32_e32 v37, v23
	v_fma_f32 v10, -v23, v37, 1.0
	v_fmac_f32_e32 v37, v10, v37
	v_mul_lo_u32 v10, s45, v1
	v_mul_f32_e32 v42, v41, v37
	v_add_nc_u32_e32 v13, v3, v10
	v_fma_f32 v15, -v23, v42, v41
	v_add_nc_u32_e32 v10, v36, v10
	v_ashrrev_i32_e32 v14, 31, v13
	v_fmac_f32_e32 v42, v15, v37
	v_lshlrev_b64 v[15:16], 2, v[4:5]
	v_lshlrev_b64 v[39:40], 2, v[13:14]
	v_fma_f32 v4, -v23, v42, v41
	v_add_co_u32 v12, s5, s48, v15
	v_add_co_ci_u32_e64 v13, null, s49, v16, s5
	v_div_fmas_f32 v4, v4, v37, v42
	v_add_co_u32 v14, vcc_lo, s50, v39
	v_add_co_ci_u32_e64 v15, null, s51, v40, vcc_lo
	v_add_co_u32 v16, vcc_lo, s48, v21
	v_div_fixup_f32 v4, v4, v17, 1.0
	v_add_co_ci_u32_e64 v17, null, s49, v22, vcc_lo
	s_inst_prefetch 0x1
	.p2align	6
.LBB2_196:                              ;   Parent Loop BB2_6 Depth=1
                                        ; =>  This Inner Loop Header: Depth=2
	global_load_dword v11, v[16:17], off
	global_load_dword v21, v[12:13], off
	v_add_nc_u32_e32 v18, 0x100, v18
	v_cmp_le_i32_e32 vcc_lo, s22, v18
	s_or_b32 s54, vcc_lo, s54
	s_waitcnt vmcnt(0)
	v_fma_f32 v11, v19, v11, -v21
	v_mul_f32_e32 v11, v4, v11
	global_store_dword v[14:15], v11, off
	global_load_dword v23, v[12:13], off
	global_load_dword v37, v[16:17], off
	v_ashrrev_i32_e32 v11, 31, v10
	v_lshlrev_b64 v[21:22], 2, v[10:11]
	v_add_nc_u32_e32 v10, 0x100, v10
	v_add_co_u32 v21, s5, s20, v21
	v_add_co_ci_u32_e64 v22, null, s33, v22, s5
	v_add_co_u32 v14, s5, 0x400, v14
	v_add_co_ci_u32_e64 v15, null, 0, v15, s5
	;; [unrolled: 2-line block ×4, first 2 shown]
	s_waitcnt vmcnt(0)
	v_fma_f32 v11, v20, v23, -v37
	v_mul_f32_e32 v11, v4, v11
	global_store_dword v[21:22], v11, off
	s_andn2_b32 exec_lo, exec_lo, s54
	s_cbranch_execnz .LBB2_196
.LBB2_197:                              ;   in Loop: Header=BB2_6 Depth=1
	s_inst_prefetch 0x2
	s_or_b32 exec_lo, exec_lo, s7
	s_and_saveexec_b32 s5, s0
	s_cbranch_execz .LBB2_199
; %bb.198:                              ;   in Loop: Header=BB2_6 Depth=1
	global_load_dword v4, v[8:9], off
	v_mul_lo_u32 v10, v1, s21
	v_add_co_u32 v12, vcc_lo, s20, v6
	v_add_co_ci_u32_e64 v13, null, s33, v7, vcc_lo
	v_ashrrev_i32_e32 v11, 31, v10
	v_lshlrev_b64 v[10:11], 2, v[10:11]
	v_add_co_u32 v10, vcc_lo, v12, v10
	v_add_co_ci_u32_e64 v11, null, v13, v11, vcc_lo
	s_waitcnt vmcnt(0)
	global_store_dword v[10:11], v4, off
	global_load_dword v4, v[8:9], off offset:4
	v_mul_lo_u32 v8, v38, s47
	v_ashrrev_i32_e32 v9, 31, v8
	v_lshlrev_b64 v[8:9], 2, v[8:9]
	v_add_co_u32 v8, vcc_lo, s8, v8
	v_add_co_ci_u32_e64 v9, null, s9, v9, vcc_lo
	s_waitcnt vmcnt(0)
	global_store_dword v[10:11], v4, off offset:4
	global_load_dword v4, v[8:9], off
	v_mul_lo_u32 v8, v38, s45
	v_ashrrev_i32_e32 v9, 31, v8
	v_lshlrev_b64 v[8:9], 2, v[8:9]
	v_add_co_u32 v8, vcc_lo, s20, v8
	v_add_co_ci_u32_e64 v9, null, s33, v9, vcc_lo
	s_waitcnt vmcnt(0)
	global_store_dword v[8:9], v4, off
.LBB2_199:                              ;   in Loop: Header=BB2_6 Depth=1
	s_or_b32 exec_lo, exec_lo, s5
	s_waitcnt_vscnt null, 0x0
	s_barrier
	buffer_gl0_inv
                                        ; implicit-def: $vgpr8_vgpr9
                                        ; implicit-def: $vgpr10_vgpr11
                                        ; implicit-def: $vgpr37
.LBB2_200:                              ;   in Loop: Header=BB2_6 Depth=1
	s_or_saveexec_b32 s6, s6
	v_mov_b32_e32 v4, 2
	s_mov_b32 s5, 0
	s_mov_b32 s7, 0
	s_xor_b32 exec_lo, exec_lo, s6
	s_cbranch_execz .LBB2_207
; %bb.201:                              ;   in Loop: Header=BB2_6 Depth=1
	global_load_dword v9, v[8:9], off
	s_and_saveexec_b32 s7, s0
	s_cbranch_execz .LBB2_203
; %bb.202:                              ;   in Loop: Header=BB2_6 Depth=1
	v_mul_lo_u32 v12, v1, s45
	v_ashrrev_i32_e32 v13, 31, v12
	v_lshlrev_b64 v[12:13], 2, v[12:13]
	v_add_co_u32 v12, vcc_lo, s20, v12
	v_add_co_ci_u32_e64 v13, null, s33, v13, vcc_lo
	s_waitcnt vmcnt(0)
	global_store_dword v[12:13], v9, off
.LBB2_203:                              ;   in Loop: Header=BB2_6 Depth=1
	s_or_b32 exec_lo, exec_lo, s7
	s_and_saveexec_b32 s7, s4
	s_cbranch_execz .LBB2_206
; %bb.204:                              ;   in Loop: Header=BB2_6 Depth=1
	s_waitcnt vmcnt(0)
	v_div_scale_f32 v4, null, v9, v9, 1.0
	v_div_scale_f32 v13, vcc_lo, 1.0, v9, 1.0
	s_mov_b32 s54, 0
	v_rcp_f32_e32 v8, v4
	v_fma_f32 v12, -v4, v8, 1.0
	v_fmac_f32_e32 v8, v12, v8
	v_mul_f32_e32 v12, v13, v8
	v_fma_f32 v14, -v4, v12, v13
	v_fmac_f32_e32 v12, v14, v8
	v_fma_f32 v13, -v4, v12, v13
	v_mul_lo_u32 v4, v1, s21
	v_div_fmas_f32 v12, v13, v8, v12
	v_ashrrev_i32_e32 v8, 31, v4
	v_div_fixup_f32 v9, v12, v9, 1.0
	v_mov_b32_e32 v12, v0
	.p2align	6
.LBB2_205:                              ;   Parent Loop BB2_6 Depth=1
                                        ; =>  This Inner Loop Header: Depth=2
	v_add_nc_u32_e32 v15, v1, v12
	v_add_nc_u32_e32 v12, 0x100, v12
	v_add_co_u32 v13, vcc_lo, v15, v10
	v_add_co_ci_u32_e64 v14, null, 0, v11, vcc_lo
	v_lshlrev_b64 v[13:14], 2, v[13:14]
	v_add_co_u32 v13, vcc_lo, s8, v13
	v_add_co_ci_u32_e64 v14, null, s9, v14, vcc_lo
	global_load_dword v16, v[13:14], off offset:4
	v_add_co_u32 v13, vcc_lo, v15, v4
	v_add_co_ci_u32_e64 v14, null, 0, v8, vcc_lo
	v_cmp_ge_i32_e32 vcc_lo, v12, v37
	v_lshlrev_b64 v[13:14], 2, v[13:14]
	s_or_b32 s54, vcc_lo, s54
	v_add_co_u32 v13, s4, s20, v13
	v_add_co_ci_u32_e64 v14, null, s33, v14, s4
	s_waitcnt vmcnt(0)
	v_mul_f32_e32 v15, v9, v16
	global_store_dword v[13:14], v15, off offset:4
	s_andn2_b32 exec_lo, exec_lo, s54
	s_cbranch_execnz .LBB2_205
.LBB2_206:                              ;   in Loop: Header=BB2_6 Depth=1
	s_or_b32 exec_lo, exec_lo, s7
	v_mov_b32_e32 v4, 1
	s_mov_b32 s7, exec_lo
	s_waitcnt vmcnt(0)
	s_waitcnt_vscnt null, 0x0
	s_barrier
	buffer_gl0_inv
.LBB2_207:                              ;   in Loop: Header=BB2_6 Depth=1
	s_or_b32 exec_lo, exec_lo, s6
	s_and_b32 vcc_lo, exec_lo, s5
	s_cbranch_vccz .LBB2_211
.LBB2_208:                              ;   in Loop: Header=BB2_6 Depth=1
	ds_read_b32 v2, v5 offset:2052
	s_waitcnt lgkmcnt(0)
	v_readfirstlane_b32 s4, v2
	s_cmp_eq_u32 s4, 0
	s_cselect_b32 s4, -1, 0
	s_and_b32 s5, s0, s4
	s_and_saveexec_b32 s4, s5
; %bb.209:                              ;   in Loop: Header=BB2_6 Depth=1
	ds_write_b32 v5, v38 offset:2052
; %bb.210:                              ;   in Loop: Header=BB2_6 Depth=1
	s_or_b32 exec_lo, exec_lo, s4
	v_mov_b32_e32 v4, 1
	v_mov_b32_e32 v2, v1
	s_mov_b32 s7, -1
.LBB2_211:                              ;   in Loop: Header=BB2_6 Depth=1
	s_and_saveexec_b32 s4, s0
	s_cbranch_execz .LBB2_4
; %bb.212:                              ;   in Loop: Header=BB2_6 Depth=1
	v_add_co_u32 v6, vcc_lo, s40, v6
	v_add_co_ci_u32_e64 v7, null, s41, v7, vcc_lo
	s_xor_b32 s5, s7, -1
	s_and_saveexec_b32 s6, s5
	s_xor_b32 s5, exec_lo, s6
	s_cbranch_execz .LBB2_214
; %bb.213:                              ;   in Loop: Header=BB2_6 Depth=1
	v_not_b32_e32 v8, v2
                                        ; implicit-def: $vgpr2
	v_mov_b32_e32 v9, v8
	global_store_dwordx2 v[6:7], v[8:9], off
                                        ; implicit-def: $vgpr6_vgpr7
.LBB2_214:                              ;   in Loop: Header=BB2_6 Depth=1
	s_andn2_saveexec_b32 s5, s5
	s_cbranch_execz .LBB2_4
; %bb.215:                              ;   in Loop: Header=BB2_6 Depth=1
	v_add_nc_u32_e32 v2, 1, v2
	global_store_dword v[6:7], v2, off
	s_branch .LBB2_4
.LBB2_216:
	s_or_b32 exec_lo, exec_lo, s11
	s_and_saveexec_b32 s1, s0
	s_cbranch_execz .LBB2_218
.LBB2_217:
	v_mov_b32_e32 v2, 0
	s_lshl_b64 s[2:3], s[24:25], 2
	s_add_u32 s4, s16, s2
	s_addc_u32 s5, s17, s3
	ds_read_b32 v3, v2 offset:2052
	s_add_u32 s2, s14, s2
	s_addc_u32 s3, s15, s3
	global_store_dword v2, v1, s[4:5]
	s_waitcnt lgkmcnt(0)
	global_store_dword v2, v3, s[2:3]
.LBB2_218:
	s_or_b32 exec_lo, exec_lo, s1
	s_mov_b32 s10, exec_lo
	v_cmpx_gt_i32_e64 s22, v1
	s_cbranch_execz .LBB2_239
; %bb.219:
	v_ashrrev_i32_e32 v2, 31, v1
	s_add_u32 s6, s26, s34
	s_addc_u32 s7, s27, s35
	s_ashr_i32 s1, s23, 31
	s_mov_b32 s0, s23
	v_lshlrev_b64 v[2:3], 2, v[1:2]
	s_ashr_i32 s5, s22, 31
	s_mov_b32 s4, s22
	s_lshl_b64 s[2:3], s[0:1], 2
	s_lshl_b64 s[4:5], s[4:5], 2
	s_add_u32 s0, s28, s30
	s_addc_u32 s1, s29, s31
	v_add_co_u32 v4, s0, s0, v2
	v_add_co_ci_u32_e64 v5, null, s1, v3, s0
	v_add_co_u32 v2, s0, s6, v2
	v_add_co_ci_u32_e64 v3, null, s7, v3, s0
	;; [unrolled: 2-line block ×3, first 2 shown]
	v_mov_b32_e32 v5, 0
	v_add_co_u32 v6, s0, s18, v4
	v_add_co_ci_u32_e64 v7, null, s19, v7, s0
	v_mov_b32_e32 v8, v1
	s_ashr_i32 s1, s21, 31
	s_mov_b32 s0, s21
	s_mov_b32 s11, 0
	s_lshl_b64 s[6:7], s[0:1], 2
	v_cmp_ne_u32_e32 vcc_lo, 0, v1
	s_branch .LBB2_221
.LBB2_220:                              ;   in Loop: Header=BB2_221 Depth=1
	s_or_b32 exec_lo, exec_lo, s1
	v_add_nc_u32_e32 v8, s23, v8
	v_add_co_u32 v2, s0, v2, s2
	v_add_co_ci_u32_e64 v3, null, s3, v3, s0
	v_cmp_le_i32_e64 s0, s22, v8
	v_add_co_u32 v6, s1, v6, s2
	v_add_co_ci_u32_e64 v7, null, s3, v7, s1
	s_or_b32 s11, s0, s11
	s_andn2_b32 exec_lo, exec_lo, s11
	s_cbranch_execz .LBB2_239
.LBB2_221:                              ; =>This Loop Header: Depth=1
                                        ;     Child Loop BB2_224 Depth 2
                                        ;       Child Loop BB2_227 Depth 3
                                        ;         Child Loop BB2_229 Depth 4
                                        ;     Child Loop BB2_235 Depth 2
                                        ;       Child Loop BB2_237 Depth 3
	v_sub_nc_u32_e32 v9, s22, v8
	s_mov_b32 s12, exec_lo
	v_min_i32_e32 v22, s23, v9
	v_add_nc_u32_e32 v10, v22, v8
	v_cmpx_lt_i32_e32 0, v22
	s_cbranch_execz .LBB2_231
; %bb.222:                              ;   in Loop: Header=BB2_221 Depth=1
	v_mov_b32_e32 v12, v7
	v_mov_b32_e32 v14, v3
	;; [unrolled: 1-line block ×5, first 2 shown]
	s_mov_b32 s13, 0
	s_branch .LBB2_224
.LBB2_223:                              ;   in Loop: Header=BB2_224 Depth=2
	s_or_b32 exec_lo, exec_lo, s14
	v_add_nc_u32_e32 v15, 1, v15
	v_add_co_u32 v13, s0, v13, 4
	v_add_co_ci_u32_e64 v14, null, 0, v14, s0
	v_cmp_ge_i32_e64 s0, v15, v10
	v_add_co_u32 v11, s1, v11, 4
	v_add_co_ci_u32_e64 v12, null, 0, v12, s1
	s_or_b32 s13, s0, s13
	s_andn2_b32 exec_lo, exec_lo, s13
	s_cbranch_execz .LBB2_231
.LBB2_224:                              ;   Parent Loop BB2_221 Depth=1
                                        ; =>  This Loop Header: Depth=2
                                        ;       Child Loop BB2_227 Depth 3
                                        ;         Child Loop BB2_229 Depth 4
	v_sub_nc_u32_e32 v23, v10, v15
	s_mov_b32 s14, exec_lo
	v_cmpx_lt_i32_e64 v0, v23
	s_cbranch_execz .LBB2_223
; %bb.225:                              ;   in Loop: Header=BB2_224 Depth=2
	v_mul_lo_u32 v17, v15, s21
	v_ashrrev_i32_e32 v16, 31, v15
	s_mov_b32 s15, 0
	v_lshlrev_b64 v[19:20], 2, v[15:16]
	v_ashrrev_i32_e32 v18, 31, v17
	v_add_co_u32 v4, s0, s20, v19
	v_lshlrev_b64 v[25:26], 2, v[17:18]
	v_add_co_ci_u32_e64 v18, null, s33, v20, s0
	v_mov_b32_e32 v17, v12
	v_mov_b32_e32 v16, v11
	v_add_co_u32 v25, s0, v4, v25
	v_add_co_ci_u32_e64 v26, null, v18, v26, s0
	v_mov_b32_e32 v4, v0
	s_branch .LBB2_227
.LBB2_226:                              ;   in Loop: Header=BB2_227 Depth=3
	s_or_b32 exec_lo, exec_lo, s16
	v_lshlrev_b64 v[18:19], 2, v[4:5]
	v_add_nc_u32_e32 v4, 0x100, v4
	v_add_co_u32 v16, s1, 0x400, v16
	v_add_co_ci_u32_e64 v17, null, 0, v17, s1
	v_add_co_u32 v18, s0, v25, v18
	v_add_co_ci_u32_e64 v19, null, v26, v19, s0
	v_cmp_ge_i32_e64 s0, v4, v23
	global_load_dword v20, v[18:19], off
	s_or_b32 s15, s0, s15
	s_waitcnt vmcnt(0)
	v_sub_f32_e32 v20, v20, v27
	global_store_dword v[18:19], v20, off
	s_andn2_b32 exec_lo, exec_lo, s15
	s_cbranch_execz .LBB2_223
.LBB2_227:                              ;   Parent Loop BB2_221 Depth=1
                                        ;     Parent Loop BB2_224 Depth=2
                                        ; =>    This Loop Header: Depth=3
                                        ;         Child Loop BB2_229 Depth 4
	v_mov_b32_e32 v27, 0
	s_and_saveexec_b32 s16, vcc_lo
	s_cbranch_execz .LBB2_226
; %bb.228:                              ;   in Loop: Header=BB2_227 Depth=3
	v_mov_b32_e32 v19, v17
	v_mov_b32_e32 v21, v14
	;; [unrolled: 1-line block ×6, first 2 shown]
	s_mov_b32 s17, 0
	.p2align	6
.LBB2_229:                              ;   Parent Loop BB2_221 Depth=1
                                        ;     Parent Loop BB2_224 Depth=2
                                        ;       Parent Loop BB2_227 Depth=3
                                        ; =>      This Inner Loop Header: Depth=4
	global_load_dword v29, v[18:19], off
	global_load_dword v30, v[20:21], off
	v_add_nc_u32_e32 v28, -1, v28
	v_add_co_u32 v20, s0, v20, s4
	v_add_co_ci_u32_e64 v21, null, s5, v21, s0
	v_add_co_u32 v18, s0, v18, s6
	v_cmp_eq_u32_e64 s1, 0, v28
	v_add_co_ci_u32_e64 v19, null, s7, v19, s0
	s_or_b32 s17, s1, s17
	s_waitcnt vmcnt(0)
	v_fmac_f32_e32 v27, v29, v30
	s_andn2_b32 exec_lo, exec_lo, s17
	s_cbranch_execnz .LBB2_229
; %bb.230:                              ;   in Loop: Header=BB2_227 Depth=3
	s_or_b32 exec_lo, exec_lo, s17
	s_branch .LBB2_226
.LBB2_231:                              ;   in Loop: Header=BB2_221 Depth=1
	s_or_b32 exec_lo, exec_lo, s12
	s_mov_b32 s1, exec_lo
	v_cmpx_gt_i32_e64 s22, v10
	s_cbranch_execz .LBB2_220
; %bb.232:                              ;   in Loop: Header=BB2_221 Depth=1
	v_sub_nc_u32_e32 v13, v9, v22
	v_mul_lo_u32 v14, v13, v22
	v_cmp_lt_i32_e64 s0, v0, v14
	s_and_b32 exec_lo, exec_lo, s0
	s_cbranch_execz .LBB2_220
; %bb.233:                              ;   in Loop: Header=BB2_221 Depth=1
	v_sub_nc_u32_e32 v4, 0, v13
	v_ashrrev_i32_e32 v11, 31, v10
	v_mul_lo_u32 v19, v8, s21
	v_ashrrev_i32_e32 v9, 31, v8
	v_ashrrev_i32_e32 v16, 31, v13
	v_max_i32_e32 v15, v13, v4
	v_lshlrev_b64 v[10:11], 2, v[10:11]
	v_mov_b32_e32 v25, v0
	v_lshlrev_b64 v[21:22], 2, v[8:9]
	s_mov_b32 s12, 0
	v_cvt_f32_u32_e32 v4, v15
	v_sub_nc_u32_e32 v12, 0, v15
	v_ashrrev_i32_e32 v20, 31, v19
	v_add_co_u32 v17, s0, s20, v10
	v_rcp_iflag_f32_e32 v4, v4
	v_add_co_ci_u32_e64 v18, null, s33, v11, s0
	v_lshlrev_b64 v[9:10], 2, v[19:20]
	v_add_co_u32 v19, s0, s8, v21
	v_add_co_ci_u32_e64 v20, null, s9, v22, s0
	v_add_co_u32 v21, s0, v17, v9
	v_mul_f32_e32 v4, 0x4f7ffffe, v4
	v_add_co_ci_u32_e64 v22, null, v18, v10, s0
	v_cvt_u32_f32_e32 v4, v4
	v_mul_lo_u32 v12, v12, v4
	v_mul_hi_u32 v11, v4, v12
	v_add_nc_u32_e32 v23, v4, v11
	s_branch .LBB2_235
.LBB2_234:                              ;   in Loop: Header=BB2_235 Depth=2
	s_or_b32 exec_lo, exec_lo, s13
	v_mad_u64_u32 v[9:10], null, v27, s21, v[4:5]
	v_add_nc_u32_e32 v25, 0x100, v25
	v_ashrrev_i32_e32 v10, 31, v9
	v_lshlrev_b64 v[9:10], 2, v[9:10]
	v_add_co_u32 v9, s0, v21, v9
	v_add_co_ci_u32_e64 v10, null, v22, v10, s0
	v_cmp_ge_i32_e64 s0, v25, v14
	global_load_dword v4, v[9:10], off
	s_or_b32 s12, s0, s12
	s_waitcnt vmcnt(0)
	v_sub_f32_e32 v4, v4, v26
	global_store_dword v[9:10], v4, off
	s_andn2_b32 exec_lo, exec_lo, s12
	s_cbranch_execz .LBB2_220
.LBB2_235:                              ;   Parent Loop BB2_221 Depth=1
                                        ; =>  This Loop Header: Depth=2
                                        ;       Child Loop BB2_237 Depth 3
	v_mul_hi_u32 v4, v25, v23
	v_mov_b32_e32 v26, 0
	v_mul_lo_u32 v9, v4, v15
	v_add_nc_u32_e32 v10, 1, v4
	v_sub_nc_u32_e32 v9, v25, v9
	v_sub_nc_u32_e32 v11, v9, v15
	v_cmp_ge_u32_e64 s0, v9, v15
	v_cndmask_b32_e64 v4, v4, v10, s0
	v_cndmask_b32_e64 v9, v9, v11, s0
	v_add_nc_u32_e32 v10, 1, v4
	v_cmp_ge_u32_e64 s0, v9, v15
	v_cndmask_b32_e64 v4, v4, v10, s0
	v_xor_b32_e32 v4, v4, v16
	v_sub_nc_u32_e32 v27, v4, v16
	v_mul_lo_u32 v4, v27, v13
	v_sub_nc_u32_e32 v4, v25, v4
	s_and_saveexec_b32 s13, vcc_lo
	s_cbranch_execz .LBB2_234
; %bb.236:                              ;   in Loop: Header=BB2_235 Depth=2
	v_mov_b32_e32 v26, 0
	v_mov_b32_e32 v9, v4
	;; [unrolled: 1-line block ×4, first 2 shown]
	s_mov_b32 s14, 0
	.p2align	6
.LBB2_237:                              ;   Parent Loop BB2_221 Depth=1
                                        ;     Parent Loop BB2_235 Depth=2
                                        ; =>    This Inner Loop Header: Depth=3
	v_ashrrev_i32_e32 v10, 31, v9
	v_ashrrev_i32_e32 v12, 31, v11
	v_add_nc_u32_e32 v28, -1, v28
	v_lshlrev_b64 v[29:30], 2, v[9:10]
	v_lshlrev_b64 v[31:32], 2, v[11:12]
	v_add_nc_u32_e32 v11, s22, v11
	v_add_nc_u32_e32 v9, s21, v9
	v_add_co_u32 v29, s0, v17, v29
	v_add_co_ci_u32_e64 v30, null, v18, v30, s0
	v_add_co_u32 v31, s0, v19, v31
	v_add_co_ci_u32_e64 v32, null, v20, v32, s0
	global_load_dword v10, v[29:30], off
	global_load_dword v12, v[31:32], off
	v_cmp_eq_u32_e64 s0, 0, v28
	s_or_b32 s14, s0, s14
	s_waitcnt vmcnt(0)
	v_fmac_f32_e32 v26, v10, v12
	s_andn2_b32 exec_lo, exec_lo, s14
	s_cbranch_execnz .LBB2_237
; %bb.238:                              ;   in Loop: Header=BB2_235 Depth=2
	s_or_b32 exec_lo, exec_lo, s14
	s_branch .LBB2_234
.LBB2_239:
	s_or_b32 exec_lo, exec_lo, s10
	s_waitcnt lgkmcnt(0)
	s_waitcnt_vscnt null, 0x0
	s_barrier
	buffer_gl0_inv
	s_mov_b32 s0, exec_lo
	v_cmpx_lt_i32_e32 1, v1
	s_cbranch_execz .LBB2_247
; %bb.240:
	v_mov_b32_e32 v3, 0
	s_lshl_b32 s1, s21, 8
	s_mov_b32 s2, 0
	s_branch .LBB2_243
.LBB2_241:                              ;   in Loop: Header=BB2_243 Depth=1
	s_inst_prefetch 0x2
	s_waitcnt_vscnt null, 0x0
	s_barrier
	buffer_gl0_inv
.LBB2_242:                              ;   in Loop: Header=BB2_243 Depth=1
	s_or_b32 exec_lo, exec_lo, s0
	v_cmp_gt_u32_e32 vcc_lo, 2, v4
	v_mov_b32_e32 v1, v4
	s_or_b32 s2, vcc_lo, s2
	s_andn2_b32 exec_lo, exec_lo, s2
	s_cbranch_execz .LBB2_247
.LBB2_243:                              ; =>This Loop Header: Depth=1
                                        ;     Child Loop BB2_246 Depth 2
	v_add_nc_u32_e32 v2, -1, v1
	v_add_nc_u32_e32 v6, -2, v1
	v_lshlrev_b64 v[4:5], 2, v[2:3]
	v_add_co_u32 v4, vcc_lo, s40, v4
	v_add_co_ci_u32_e64 v5, null, s41, v5, vcc_lo
	global_load_dword v4, v[4:5], off
	s_waitcnt vmcnt(0)
	v_not_b32_e32 v5, v4
	v_add_nc_u32_e32 v7, -1, v4
	v_cmp_gt_i32_e32 vcc_lo, 0, v4
	v_cndmask_b32_e32 v5, v7, v5, vcc_lo
	v_cndmask_b32_e32 v4, v2, v6, vcc_lo
	v_cmp_ne_u32_e32 vcc_lo, v5, v2
	v_cmp_ne_u32_e64 s0, 0, v4
	s_and_b32 s3, vcc_lo, s0
	s_and_saveexec_b32 s0, s3
	s_cbranch_execz .LBB2_242
; %bb.244:                              ;   in Loop: Header=BB2_243 Depth=1
	v_cmp_lt_i32_e32 vcc_lo, v0, v4
	s_and_b32 exec_lo, exec_lo, vcc_lo
	s_cbranch_execz .LBB2_241
; %bb.245:                              ;   in Loop: Header=BB2_243 Depth=1
	v_ashrrev_i32_e32 v2, 31, v1
	v_mov_b32_e32 v6, v24
	v_mov_b32_e32 v7, v0
	s_mov_b32 s3, 0
	s_inst_prefetch 0x1
	.p2align	6
.LBB2_246:                              ;   Parent Loop BB2_243 Depth=1
                                        ; =>  This Inner Loop Header: Depth=2
	v_ashrrev_i32_e32 v9, 31, v6
	v_add_nc_u32_e32 v8, v5, v6
	v_add_co_u32 v10, vcc_lo, v6, v1
	v_add_nc_u32_e32 v7, 0x100, v7
	v_add_co_ci_u32_e64 v11, null, v9, v2, vcc_lo
	v_ashrrev_i32_e32 v9, 31, v8
	v_add_nc_u32_e32 v6, s1, v6
	v_lshlrev_b64 v[10:11], 2, v[10:11]
	v_lshlrev_b64 v[8:9], 2, v[8:9]
	v_add_co_u32 v10, vcc_lo, s20, v10
	v_add_co_ci_u32_e64 v11, null, s33, v11, vcc_lo
	v_add_co_u32 v8, vcc_lo, s20, v8
	v_add_co_ci_u32_e64 v9, null, s33, v9, vcc_lo
	s_clause 0x1
	global_load_dword v12, v[10:11], off offset:-4
	global_load_dword v13, v[8:9], off
	v_cmp_ge_i32_e32 vcc_lo, v7, v4
	s_waitcnt vmcnt(1)
	global_store_dword v[8:9], v12, off
	s_waitcnt vmcnt(0)
	global_store_dword v[10:11], v13, off offset:-4
	s_or_b32 s3, vcc_lo, s3
	s_andn2_b32 exec_lo, exec_lo, s3
	s_cbranch_execnz .LBB2_246
	s_branch .LBB2_241
.LBB2_247:
	s_endpgm
.LBB2_248:
	v_mov_b32_e32 v1, 0
	s_and_saveexec_b32 s1, s0
	s_cbranch_execnz .LBB2_217
	s_branch .LBB2_218
	.section	.rodata,"a",@progbits
	.p2align	6, 0x0
	.amdhsa_kernel _ZN9rocsolver6v33100L18lasyf_kernel_lowerIfPfEEviiPiT0_iilS3_lS3_PT_
		.amdhsa_group_segment_fixed_size 2068
		.amdhsa_private_segment_fixed_size 0
		.amdhsa_kernarg_size 72
		.amdhsa_user_sgpr_count 6
		.amdhsa_user_sgpr_private_segment_buffer 1
		.amdhsa_user_sgpr_dispatch_ptr 0
		.amdhsa_user_sgpr_queue_ptr 0
		.amdhsa_user_sgpr_kernarg_segment_ptr 1
		.amdhsa_user_sgpr_dispatch_id 0
		.amdhsa_user_sgpr_flat_scratch_init 0
		.amdhsa_user_sgpr_private_segment_size 0
		.amdhsa_wavefront_size32 1
		.amdhsa_uses_dynamic_stack 0
		.amdhsa_system_sgpr_private_segment_wavefront_offset 0
		.amdhsa_system_sgpr_workgroup_id_x 1
		.amdhsa_system_sgpr_workgroup_id_y 1
		.amdhsa_system_sgpr_workgroup_id_z 0
		.amdhsa_system_sgpr_workgroup_info 0
		.amdhsa_system_vgpr_workitem_id 0
		.amdhsa_next_free_vgpr 45
		.amdhsa_next_free_sgpr 58
		.amdhsa_reserve_vcc 1
		.amdhsa_reserve_flat_scratch 0
		.amdhsa_float_round_mode_32 0
		.amdhsa_float_round_mode_16_64 0
		.amdhsa_float_denorm_mode_32 3
		.amdhsa_float_denorm_mode_16_64 3
		.amdhsa_dx10_clamp 1
		.amdhsa_ieee_mode 1
		.amdhsa_fp16_overflow 0
		.amdhsa_workgroup_processor_mode 1
		.amdhsa_memory_ordered 1
		.amdhsa_forward_progress 1
		.amdhsa_shared_vgpr_count 0
		.amdhsa_exception_fp_ieee_invalid_op 0
		.amdhsa_exception_fp_denorm_src 0
		.amdhsa_exception_fp_ieee_div_zero 0
		.amdhsa_exception_fp_ieee_overflow 0
		.amdhsa_exception_fp_ieee_underflow 0
		.amdhsa_exception_fp_ieee_inexact 0
		.amdhsa_exception_int_div_zero 0
	.end_amdhsa_kernel
	.section	.text._ZN9rocsolver6v33100L18lasyf_kernel_lowerIfPfEEviiPiT0_iilS3_lS3_PT_,"axG",@progbits,_ZN9rocsolver6v33100L18lasyf_kernel_lowerIfPfEEviiPiT0_iilS3_lS3_PT_,comdat
.Lfunc_end2:
	.size	_ZN9rocsolver6v33100L18lasyf_kernel_lowerIfPfEEviiPiT0_iilS3_lS3_PT_, .Lfunc_end2-_ZN9rocsolver6v33100L18lasyf_kernel_lowerIfPfEEviiPiT0_iilS3_lS3_PT_
                                        ; -- End function
	.set _ZN9rocsolver6v33100L18lasyf_kernel_lowerIfPfEEviiPiT0_iilS3_lS3_PT_.num_vgpr, 45
	.set _ZN9rocsolver6v33100L18lasyf_kernel_lowerIfPfEEviiPiT0_iilS3_lS3_PT_.num_agpr, 0
	.set _ZN9rocsolver6v33100L18lasyf_kernel_lowerIfPfEEviiPiT0_iilS3_lS3_PT_.numbered_sgpr, 58
	.set _ZN9rocsolver6v33100L18lasyf_kernel_lowerIfPfEEviiPiT0_iilS3_lS3_PT_.num_named_barrier, 0
	.set _ZN9rocsolver6v33100L18lasyf_kernel_lowerIfPfEEviiPiT0_iilS3_lS3_PT_.private_seg_size, 0
	.set _ZN9rocsolver6v33100L18lasyf_kernel_lowerIfPfEEviiPiT0_iilS3_lS3_PT_.uses_vcc, 1
	.set _ZN9rocsolver6v33100L18lasyf_kernel_lowerIfPfEEviiPiT0_iilS3_lS3_PT_.uses_flat_scratch, 0
	.set _ZN9rocsolver6v33100L18lasyf_kernel_lowerIfPfEEviiPiT0_iilS3_lS3_PT_.has_dyn_sized_stack, 0
	.set _ZN9rocsolver6v33100L18lasyf_kernel_lowerIfPfEEviiPiT0_iilS3_lS3_PT_.has_recursion, 0
	.set _ZN9rocsolver6v33100L18lasyf_kernel_lowerIfPfEEviiPiT0_iilS3_lS3_PT_.has_indirect_call, 0
	.section	.AMDGPU.csdata,"",@progbits
; Kernel info:
; codeLenInByte = 10476
; TotalNumSgprs: 60
; NumVgprs: 45
; ScratchSize: 0
; MemoryBound: 0
; FloatMode: 240
; IeeeMode: 1
; LDSByteSize: 2068 bytes/workgroup (compile time only)
; SGPRBlocks: 0
; VGPRBlocks: 5
; NumSGPRsForWavesPerEU: 60
; NumVGPRsForWavesPerEU: 45
; Occupancy: 16
; WaveLimiterHint : 1
; COMPUTE_PGM_RSRC2:SCRATCH_EN: 0
; COMPUTE_PGM_RSRC2:USER_SGPR: 6
; COMPUTE_PGM_RSRC2:TRAP_HANDLER: 0
; COMPUTE_PGM_RSRC2:TGID_X_EN: 1
; COMPUTE_PGM_RSRC2:TGID_Y_EN: 1
; COMPUTE_PGM_RSRC2:TGID_Z_EN: 0
; COMPUTE_PGM_RSRC2:TIDIG_COMP_CNT: 0
	.section	.text._ZN9rocsolver6v33100L18lasyf_kernel_upperIdPdEEviiPiT0_iilS3_lS3_PT_,"axG",@progbits,_ZN9rocsolver6v33100L18lasyf_kernel_upperIdPdEEviiPiT0_iilS3_lS3_PT_,comdat
	.globl	_ZN9rocsolver6v33100L18lasyf_kernel_upperIdPdEEviiPiT0_iilS3_lS3_PT_ ; -- Begin function _ZN9rocsolver6v33100L18lasyf_kernel_upperIdPdEEviiPiT0_iilS3_lS3_PT_
	.p2align	8
	.type	_ZN9rocsolver6v33100L18lasyf_kernel_upperIdPdEEviiPiT0_iilS3_lS3_PT_,@function
_ZN9rocsolver6v33100L18lasyf_kernel_upperIdPdEEviiPiT0_iilS3_lS3_PT_: ; @_ZN9rocsolver6v33100L18lasyf_kernel_upperIdPdEEviiPiT0_iilS3_lS3_PT_
; %bb.0:
	v_cmp_eq_u32_e64 s0, 0, v0
	s_mov_b32 s26, s7
	s_and_saveexec_b32 s1, s0
; %bb.1:
	v_mov_b32_e32 v1, 0
	ds_write_b32 v1, v1 offset:3100
; %bb.2:
	s_or_b32 exec_lo, exec_lo, s1
	s_clause 0x4
	s_load_dwordx2 s[20:21], s[4:5], 0x18
	s_load_dwordx8 s[8:15], s[4:5], 0x20
	s_load_dwordx2 s[22:23], s[4:5], 0x0
	s_load_dwordx4 s[16:19], s[4:5], 0x8
	s_load_dwordx2 s[24:25], s[4:5], 0x40
	s_ashr_i32 s27, s26, 31
	v_lshlrev_b32_e32 v17, 3, v0
	v_add_nc_u32_e32 v16, 1, v0
	s_waitcnt lgkmcnt(0)
	s_ashr_i32 s3, s20, 31
	s_mul_hi_u32 s1, s8, s26
	s_mul_i32 s5, s8, s27
	s_mul_i32 s6, s9, s26
	s_add_i32 s1, s1, s5
	s_mul_i32 s4, s8, s26
	s_add_i32 s5, s1, s6
	s_mov_b32 s2, s20
	s_lshl_b64 s[8:9], s[4:5], 3
	s_mul_hi_u32 s1, s12, s26
	s_add_u32 s5, s18, s8
	s_addc_u32 s6, s19, s9
	s_lshl_b64 s[28:29], s[2:3], 3
	s_mul_i32 s4, s12, s27
	s_add_u32 s20, s5, s28
	s_mul_i32 s3, s13, s26
	s_addc_u32 s33, s6, s29
	s_add_i32 s1, s1, s4
	s_mul_i32 s7, s22, s26
	s_mul_i32 s2, s12, s26
	s_add_i32 s3, s1, s3
	s_mul_i32 s12, s7, s23
	s_lshl_b64 s[2:3], s[2:3], 2
	s_ashr_i32 s13, s12, 31
	s_add_u32 s42, s10, s2
	s_addc_u32 s43, s11, s3
	s_add_i32 s44, s22, -1
	s_mov_b32 s1, s23
	s_cmp_lt_i32 s44, 0
	s_mov_b32 s10, s44
	s_cbranch_scc1 .LBB3_219
; %bb.3:
	s_lshl_b64 s[2:3], s[12:13], 3
	s_sub_i32 s45, s23, s22
	s_add_u32 s46, s24, s2
	s_addc_u32 s47, s25, s3
	s_add_i32 s56, s23, -1
	s_sub_i32 s48, s22, s23
	s_cmp_eq_u32 s23, s22
	v_add_nc_u32_e32 v1, s23, v0
	s_cselect_b32 s6, -1, 0
	s_add_i32 s49, s21, 1
	s_lshl_b32 s50, s22, 1
	s_add_u32 s3, s8, s28
	s_addc_u32 s4, s9, s29
	s_add_u32 s51, s18, s3
	s_addc_u32 s52, s19, s4
	s_ashr_i32 s5, s22, 31
	s_mov_b32 s4, s22
	v_subrev_nc_u32_e32 v1, s22, v1
	s_lshl_b64 s[30:31], s[4:5], 3
	s_ashr_i32 s5, s21, 31
	s_mov_b32 s4, s21
	v_add_co_u32 v19, s7, s51, v17
	s_lshl_b64 s[34:35], s[4:5], 3
	v_add_co_u32 v21, s4, s46, v17
	v_add_co_ci_u32_e64 v22, null, s47, 0, s4
	v_lshl_or_b32 v18, v0, 2, 0x800
	v_add_co_u32 v23, vcc_lo, v21, 8
	v_cmp_gt_u32_e64 s1, 0x80, v0
	v_cmp_gt_u32_e64 s2, 64, v0
	;; [unrolled: 1-line block ×3, first 2 shown]
	v_mov_b32_e32 v5, 0
	v_add_co_ci_u32_e64 v20, null, s52, 0, s7
	v_add_co_ci_u32_e64 v24, null, 0, v22, vcc_lo
	v_add_nc_u32_e32 v25, 1, v1
	s_mov_b32 s36, 0x66afed07
	s_lshl_b32 s53, s21, 8
	s_lshl_b32 s54, s22, 8
	s_mov_b32 s11, 0
	s_mov_b32 s37, 0x3fe47e0f
	s_xor_b32 s55, s6, -1
	s_mov_b32 s10, s44
	s_branch .LBB3_6
.LBB3_4:                                ;   in Loop: Header=BB3_6 Depth=1
	s_or_b32 exec_lo, exec_lo, s38
	s_add_i32 s10, s7, s10
	s_add_i32 s56, s10, s45
	s_cmp_lt_i32 s10, 0
	s_cselect_b32 s4, -1, 0
.LBB3_5:                                ;   in Loop: Header=BB3_6 Depth=1
	s_and_b32 vcc_lo, exec_lo, s4
	s_cbranch_vccnz .LBB3_218
.LBB3_6:                                ; =>This Loop Header: Depth=1
                                        ;     Child Loop BB3_9 Depth 2
                                        ;     Child Loop BB3_16 Depth 2
                                        ;       Child Loop BB3_18 Depth 3
                                        ;     Child Loop BB3_22 Depth 2
                                        ;     Child Loop BB3_67 Depth 2
	;; [unrolled: 1-line block ×4, first 2 shown]
                                        ;       Child Loop BB3_79 Depth 3
                                        ;     Child Loop BB3_84 Depth 2
                                        ;     Child Loop BB3_128 Depth 2
	;; [unrolled: 1-line block ×9, first 2 shown]
	s_cmp_le_i32 s10, s48
	s_cselect_b32 s4, -1, 0
	s_and_b32 s4, s55, s4
	s_and_b32 vcc_lo, exec_lo, s4
	s_mov_b32 s4, -1
	s_cbranch_vccnz .LBB3_5
; %bb.7:                                ;   in Loop: Header=BB3_6 Depth=1
	v_cmp_ge_i32_e64 s5, s10, v0
	s_and_saveexec_b32 s6, s5
	s_cbranch_execz .LBB3_10
; %bb.8:                                ;   in Loop: Header=BB3_6 Depth=1
	v_mad_u64_u32 v[1:2], null, s56, s22, v[0:1]
	v_mov_b32_e32 v6, v0
	s_mov_b32 s7, 0
	v_mad_u64_u32 v[3:4], null, s10, s21, v[0:1]
	v_ashrrev_i32_e32 v2, 31, v1
	v_lshlrev_b64 v[1:2], 3, v[1:2]
	v_ashrrev_i32_e32 v4, 31, v3
	v_add_co_u32 v1, vcc_lo, s46, v1
	v_lshlrev_b64 v[3:4], 3, v[3:4]
	v_add_co_ci_u32_e64 v2, null, s47, v2, vcc_lo
	v_add_co_u32 v3, vcc_lo, s51, v3
	v_add_co_ci_u32_e64 v4, null, s52, v4, vcc_lo
	.p2align	6
.LBB3_9:                                ;   Parent Loop BB3_6 Depth=1
                                        ; =>  This Inner Loop Header: Depth=2
	global_load_dwordx2 v[7:8], v[3:4], off
	v_add_nc_u32_e32 v6, 0x100, v6
	v_add_co_u32 v3, vcc_lo, 0x800, v3
	v_add_co_ci_u32_e64 v4, null, 0, v4, vcc_lo
	v_cmp_lt_i32_e32 vcc_lo, s10, v6
	s_or_b32 s7, vcc_lo, s7
	s_waitcnt vmcnt(0)
	global_store_dwordx2 v[1:2], v[7:8], off
	v_add_co_u32 v1, s4, 0x800, v1
	v_add_co_ci_u32_e64 v2, null, 0, v2, s4
	s_andn2_b32 exec_lo, exec_lo, s7
	s_cbranch_execnz .LBB3_9
.LBB3_10:                               ;   in Loop: Header=BB3_6 Depth=1
	s_or_b32 exec_lo, exec_lo, s6
	s_cmp_ge_i32 s10, s44
	s_mov_b32 s4, -1
	s_cselect_b32 s57, -1, 0
	s_cmp_lt_i32 s10, s44
	s_waitcnt_vscnt null, 0x0
	s_barrier
	buffer_gl0_inv
                                        ; implicit-def: $sgpr38
	s_cbranch_scc1 .LBB3_12
; %bb.11:                               ;   in Loop: Header=BB3_6 Depth=1
	s_mul_i32 s38, s56, s22
	s_mov_b32 s4, 0
	s_ashr_i32 s39, s38, 31
.LBB3_12:                               ;   in Loop: Header=BB3_6 Depth=1
	s_andn2_b32 vcc_lo, exec_lo, s4
	s_cbranch_vccnz .LBB3_20
; %bb.13:                               ;   in Loop: Header=BB3_6 Depth=1
	s_mul_i32 s38, s56, s22
	s_ashr_i32 s39, s38, 31
	s_and_saveexec_b32 s58, s5
	s_cbranch_execz .LBB3_19
; %bb.14:                               ;   in Loop: Header=BB3_6 Depth=1
	s_add_i32 s6, s10, 1
	s_not_b32 s4, s10
	s_mul_i32 s40, s6, s21
	s_lshl_b64 s[6:7], s[10:11], 3
	s_add_i32 s59, s22, s4
	s_ashr_i32 s41, s40, 31
	s_add_u32 s4, s46, s6
	s_addc_u32 s60, s47, s7
	s_add_i32 s6, s56, 1
	v_mov_b32_e32 v4, v0
	s_mul_i32 s6, s6, s22
	s_mov_b32 s63, 0
	s_ashr_i32 s7, s6, 31
	s_lshl_b64 s[6:7], s[6:7], 3
	s_add_u32 s6, s4, s6
	s_addc_u32 s7, s60, s7
	s_lshl_b64 s[60:61], s[38:39], 3
	s_add_u32 s60, s46, s60
	s_addc_u32 s61, s47, s61
	s_cmp_gt_i32 s59, 0
	s_cselect_b32 s62, -1, 0
	s_lshl_b64 s[40:41], s[40:41], 3
	v_add_co_u32 v1, vcc_lo, v19, s40
	v_add_co_ci_u32_e64 v2, null, s41, v20, vcc_lo
	s_inst_prefetch 0x1
	s_branch .LBB3_16
	.p2align	6
.LBB3_15:                               ;   in Loop: Header=BB3_16 Depth=2
	v_lshlrev_b64 v[8:9], 3, v[4:5]
	v_add_nc_u32_e32 v4, 0x100, v4
	v_add_co_u32 v1, s4, 0x800, v1
	v_add_co_ci_u32_e64 v2, null, 0, v2, s4
	v_add_co_u32 v8, vcc_lo, s60, v8
	v_add_co_ci_u32_e64 v9, null, s61, v9, vcc_lo
	v_cmp_lt_i32_e32 vcc_lo, s10, v4
	global_load_dwordx2 v[10:11], v[8:9], off
	s_or_b32 s63, vcc_lo, s63
	s_waitcnt vmcnt(0)
	v_add_f64 v[6:7], v[10:11], -v[6:7]
	global_store_dwordx2 v[8:9], v[6:7], off
	s_andn2_b32 exec_lo, exec_lo, s63
	s_cbranch_execz .LBB3_19
.LBB3_16:                               ;   Parent Loop BB3_6 Depth=1
                                        ; =>  This Loop Header: Depth=2
                                        ;       Child Loop BB3_18 Depth 3
	v_mov_b32_e32 v6, 0
	v_mov_b32_e32 v7, 0
	s_andn2_b32 vcc_lo, exec_lo, s62
	s_cbranch_vccnz .LBB3_15
; %bb.17:                               ;   in Loop: Header=BB3_16 Depth=2
	v_mov_b32_e32 v9, v2
	v_mov_b32_e32 v8, v1
	s_mov_b64 s[40:41], s[6:7]
	s_mov_b32 s4, s59
.LBB3_18:                               ;   Parent Loop BB3_6 Depth=1
                                        ;     Parent Loop BB3_16 Depth=2
                                        ; =>    This Inner Loop Header: Depth=3
	global_load_dwordx2 v[10:11], v[8:9], off
	global_load_dwordx2 v[12:13], v5, s[40:41]
	v_add_co_u32 v8, vcc_lo, v8, s34
	s_add_i32 s4, s4, -1
	v_add_co_ci_u32_e64 v9, null, s35, v9, vcc_lo
	s_add_u32 s40, s40, s30
	s_addc_u32 s41, s41, s31
	s_cmp_eq_u32 s4, 0
	s_waitcnt vmcnt(0)
	v_fma_f64 v[6:7], v[10:11], v[12:13], v[6:7]
	s_cbranch_scc0 .LBB3_18
	s_branch .LBB3_15
.LBB3_19:                               ;   in Loop: Header=BB3_6 Depth=1
	s_inst_prefetch 0x2
	s_or_b32 exec_lo, exec_lo, s58
	s_waitcnt_vscnt null, 0x0
	s_barrier
	buffer_gl0_inv
.LBB3_20:                               ;   in Loop: Header=BB3_6 Depth=1
	v_mov_b32_e32 v1, 0
	v_cmp_gt_i32_e64 s4, s10, v0
	v_mov_b32_e32 v2, 0
	v_bfrev_b32_e32 v6, -2
	s_and_saveexec_b32 s7, s4
	s_cbranch_execz .LBB3_24
; %bb.21:                               ;   in Loop: Header=BB3_6 Depth=1
	s_lshl_b64 s[40:41], s[38:39], 3
	v_mov_b32_e32 v1, 0
	v_add_co_u32 v3, vcc_lo, v21, s40
	v_add_co_ci_u32_e64 v4, null, s41, v22, vcc_lo
	v_mov_b32_e32 v2, 0
	v_bfrev_b32_e32 v6, -2
	v_mov_b32_e32 v7, v0
	s_mov_b32 s39, 0
	.p2align	6
.LBB3_22:                               ;   Parent Loop BB3_6 Depth=1
                                        ; =>  This Inner Loop Header: Depth=2
	global_load_dwordx2 v[8:9], v[3:4], off
	v_cmp_eq_u32_e32 vcc_lo, 0x7fffffff, v6
	v_add_nc_u32_e32 v10, 1, v7
	v_add_nc_u32_e32 v7, 0x100, v7
	v_add_co_u32 v3, s6, 0x800, v3
	v_add_co_ci_u32_e64 v4, null, 0, v4, s6
	v_cmp_le_i32_e64 s6, s10, v7
	s_waitcnt vmcnt(0)
	v_cmp_lt_f64_e64 s40, v[1:2], |v[8:9]|
	v_and_b32_e32 v9, 0x7fffffff, v9
	s_or_b32 vcc_lo, s40, vcc_lo
	s_or_b32 s39, s6, s39
	v_cndmask_b32_e32 v2, v2, v9, vcc_lo
	v_cndmask_b32_e32 v1, v1, v8, vcc_lo
	;; [unrolled: 1-line block ×3, first 2 shown]
	s_andn2_b32 exec_lo, exec_lo, s39
	s_cbranch_execnz .LBB3_22
; %bb.23:                               ;   in Loop: Header=BB3_6 Depth=1
	s_or_b32 exec_lo, exec_lo, s39
.LBB3_24:                               ;   in Loop: Header=BB3_6 Depth=1
	s_or_b32 exec_lo, exec_lo, s7
	s_cmp_lt_i32 s10, 2
	ds_write_b64 v17, v[1:2]
	ds_write_b32 v18, v6
	s_waitcnt lgkmcnt(0)
	s_barrier
	buffer_gl0_inv
	s_cbranch_scc1 .LBB3_61
; %bb.25:                               ;   in Loop: Header=BB3_6 Depth=1
	s_and_saveexec_b32 s7, s1
	s_cbranch_execz .LBB3_31
; %bb.26:                               ;   in Loop: Header=BB3_6 Depth=1
	ds_read_b64 v[3:4], v17 offset:1024
	ds_read_b32 v7, v18 offset:512
	s_mov_b32 s40, exec_lo
	s_waitcnt lgkmcnt(1)
	v_cmp_lt_f64_e64 s39, v[1:2], v[3:4]
	v_cmpx_nlt_f64_e32 v[1:2], v[3:4]
	s_cbranch_execz .LBB3_28
; %bb.27:                               ;   in Loop: Header=BB3_6 Depth=1
	v_cmp_eq_f64_e32 vcc_lo, v[1:2], v[3:4]
	s_waitcnt lgkmcnt(0)
	v_cmp_gt_i32_e64 s6, v6, v7
	s_andn2_b32 s39, s39, exec_lo
	s_and_b32 s6, vcc_lo, s6
	s_and_b32 s6, s6, exec_lo
	s_or_b32 s39, s39, s6
.LBB3_28:                               ;   in Loop: Header=BB3_6 Depth=1
	s_or_b32 exec_lo, exec_lo, s40
	s_and_saveexec_b32 s6, s39
	s_cbranch_execz .LBB3_30
; %bb.29:                               ;   in Loop: Header=BB3_6 Depth=1
	v_mov_b32_e32 v1, v3
	s_waitcnt lgkmcnt(0)
	v_mov_b32_e32 v6, v7
	v_mov_b32_e32 v2, v4
	ds_write_b64 v17, v[3:4]
	ds_write_b32 v18, v7
.LBB3_30:                               ;   in Loop: Header=BB3_6 Depth=1
	s_or_b32 exec_lo, exec_lo, s6
.LBB3_31:                               ;   in Loop: Header=BB3_6 Depth=1
	s_or_b32 exec_lo, exec_lo, s7
	s_waitcnt lgkmcnt(0)
	s_barrier
	buffer_gl0_inv
	s_and_saveexec_b32 s7, s2
	s_cbranch_execz .LBB3_37
; %bb.32:                               ;   in Loop: Header=BB3_6 Depth=1
	ds_read_b64 v[3:4], v17 offset:512
	ds_read_b32 v7, v18 offset:256
	s_mov_b32 s40, exec_lo
	s_waitcnt lgkmcnt(1)
	v_cmp_lt_f64_e64 s39, v[1:2], v[3:4]
	v_cmpx_nlt_f64_e32 v[1:2], v[3:4]
	s_cbranch_execz .LBB3_34
; %bb.33:                               ;   in Loop: Header=BB3_6 Depth=1
	v_cmp_eq_f64_e32 vcc_lo, v[1:2], v[3:4]
	s_waitcnt lgkmcnt(0)
	v_cmp_gt_i32_e64 s6, v6, v7
	s_andn2_b32 s39, s39, exec_lo
	s_and_b32 s6, vcc_lo, s6
	s_and_b32 s6, s6, exec_lo
	s_or_b32 s39, s39, s6
.LBB3_34:                               ;   in Loop: Header=BB3_6 Depth=1
	s_or_b32 exec_lo, exec_lo, s40
	s_and_saveexec_b32 s6, s39
	s_cbranch_execz .LBB3_36
; %bb.35:                               ;   in Loop: Header=BB3_6 Depth=1
	v_mov_b32_e32 v1, v3
	s_waitcnt lgkmcnt(0)
	v_mov_b32_e32 v6, v7
	v_mov_b32_e32 v2, v4
	ds_write_b64 v17, v[3:4]
	ds_write_b32 v18, v7
.LBB3_36:                               ;   in Loop: Header=BB3_6 Depth=1
	s_or_b32 exec_lo, exec_lo, s6
.LBB3_37:                               ;   in Loop: Header=BB3_6 Depth=1
	s_or_b32 exec_lo, exec_lo, s7
	s_waitcnt lgkmcnt(0)
	s_barrier
	buffer_gl0_inv
	s_and_saveexec_b32 s39, s3
	s_cbranch_execz .LBB3_60
; %bb.38:                               ;   in Loop: Header=BB3_6 Depth=1
	ds_read_b64 v[3:4], v17 offset:256
	ds_read_b32 v7, v18 offset:128
	s_mov_b32 s40, exec_lo
	s_waitcnt lgkmcnt(1)
	v_cmp_lt_f64_e64 s7, v[1:2], v[3:4]
	v_cmpx_nlt_f64_e32 v[1:2], v[3:4]
	s_cbranch_execz .LBB3_40
; %bb.39:                               ;   in Loop: Header=BB3_6 Depth=1
	v_cmp_eq_f64_e32 vcc_lo, v[1:2], v[3:4]
	s_waitcnt lgkmcnt(0)
	v_cmp_gt_i32_e64 s6, v6, v7
	s_andn2_b32 s7, s7, exec_lo
	s_and_b32 s6, vcc_lo, s6
	s_and_b32 s6, s6, exec_lo
	s_or_b32 s7, s7, s6
.LBB3_40:                               ;   in Loop: Header=BB3_6 Depth=1
	s_or_b32 exec_lo, exec_lo, s40
	s_and_saveexec_b32 s6, s7
	s_cbranch_execz .LBB3_42
; %bb.41:                               ;   in Loop: Header=BB3_6 Depth=1
	v_mov_b32_e32 v1, v3
	v_mov_b32_e32 v2, v4
	s_waitcnt lgkmcnt(0)
	v_mov_b32_e32 v6, v7
	ds_write_b64 v17, v[3:4]
	ds_write_b32 v18, v7
.LBB3_42:                               ;   in Loop: Header=BB3_6 Depth=1
	s_or_b32 exec_lo, exec_lo, s6
	ds_read_b64 v[3:4], v17 offset:128
	s_waitcnt lgkmcnt(1)
	ds_read_b32 v7, v18 offset:64
	s_mov_b32 s40, exec_lo
	s_waitcnt lgkmcnt(1)
	v_cmp_lt_f64_e64 s7, v[1:2], v[3:4]
	v_cmpx_nlt_f64_e32 v[1:2], v[3:4]
	s_cbranch_execz .LBB3_44
; %bb.43:                               ;   in Loop: Header=BB3_6 Depth=1
	v_cmp_eq_f64_e32 vcc_lo, v[1:2], v[3:4]
	s_waitcnt lgkmcnt(0)
	v_cmp_gt_i32_e64 s6, v6, v7
	s_andn2_b32 s7, s7, exec_lo
	s_and_b32 s6, vcc_lo, s6
	s_and_b32 s6, s6, exec_lo
	s_or_b32 s7, s7, s6
.LBB3_44:                               ;   in Loop: Header=BB3_6 Depth=1
	s_or_b32 exec_lo, exec_lo, s40
	s_and_saveexec_b32 s6, s7
	s_cbranch_execz .LBB3_46
; %bb.45:                               ;   in Loop: Header=BB3_6 Depth=1
	v_mov_b32_e32 v1, v3
	v_mov_b32_e32 v2, v4
	s_waitcnt lgkmcnt(0)
	v_mov_b32_e32 v6, v7
	ds_write_b64 v17, v[3:4]
	ds_write_b32 v18, v7
.LBB3_46:                               ;   in Loop: Header=BB3_6 Depth=1
	s_or_b32 exec_lo, exec_lo, s6
	ds_read_b64 v[3:4], v17 offset:64
	s_waitcnt lgkmcnt(1)
	;; [unrolled: 29-line block ×5, first 2 shown]
	ds_read_b32 v7, v18 offset:4
	s_waitcnt lgkmcnt(1)
	v_cmp_eq_f64_e32 vcc_lo, v[1:2], v[3:4]
	v_cmp_lt_f64_e64 s6, v[1:2], v[3:4]
	s_waitcnt lgkmcnt(0)
	v_cmp_gt_i32_e64 s7, v6, v7
	s_and_b32 s7, vcc_lo, s7
	s_or_b32 s6, s6, s7
	s_and_b32 exec_lo, exec_lo, s6
	s_cbranch_execz .LBB3_60
; %bb.59:                               ;   in Loop: Header=BB3_6 Depth=1
	ds_write_b64 v17, v[3:4]
	ds_write_b32 v18, v7
.LBB3_60:                               ;   in Loop: Header=BB3_6 Depth=1
	s_or_b32 exec_lo, exec_lo, s39
.LBB3_61:                               ;   in Loop: Header=BB3_6 Depth=1
	s_and_saveexec_b32 s6, s0
	s_cbranch_execz .LBB3_63
; %bb.62:                               ;   in Loop: Header=BB3_6 Depth=1
	s_add_i32 s40, s38, s10
	s_ashr_i32 s41, s40, 31
	s_lshl_b64 s[40:41], s[40:41], 3
	s_add_u32 s40, s46, s40
	s_addc_u32 s41, s47, s41
	global_load_dwordx2 v[1:2], v5, s[40:41]
	ds_read_b32 v6, v5 offset:2048
	ds_read_b64 v[3:4], v5
	s_waitcnt lgkmcnt(1)
	v_add_nc_u32_e32 v6, -1, v6
	s_waitcnt vmcnt(0)
	v_and_b32_e32 v2, 0x7fffffff, v2
	ds_write_b32 v5, v6 offset:3096
	s_waitcnt lgkmcnt(1)
	ds_write_b128 v5, v[1:4] offset:3072
.LBB3_63:                               ;   in Loop: Header=BB3_6 Depth=1
	s_or_b32 exec_lo, exec_lo, s6
	s_waitcnt lgkmcnt(0)
	s_barrier
	buffer_gl0_inv
	ds_read_b128 v[1:4], v5 offset:3072
	s_waitcnt lgkmcnt(0)
	v_cmp_lt_f64_e32 vcc_lo, v[1:2], v[3:4]
	v_cndmask_b32_e32 v7, v2, v4, vcc_lo
	v_cndmask_b32_e32 v6, v1, v3, vcc_lo
	v_cmp_neq_f64_e32 vcc_lo, 0, v[6:7]
	s_cbranch_vccz .LBB3_80
; %bb.64:                               ;   in Loop: Header=BB3_6 Depth=1
	v_mul_f64 v[3:4], v[3:4], s[36:37]
	v_cmp_ge_f64_e32 vcc_lo, v[1:2], v[3:4]
	s_cbranch_vccnz .LBB3_176
; %bb.65:                               ;   in Loop: Header=BB3_6 Depth=1
	ds_read_b32 v1, v5 offset:3096
	s_mov_b32 s7, exec_lo
	s_waitcnt lgkmcnt(0)
	v_cmpx_le_i32_e64 v0, v1
	s_cbranch_execz .LBB3_68
; %bb.66:                               ;   in Loop: Header=BB3_6 Depth=1
	v_mad_u64_u32 v[2:3], null, v1, s21, v[0:1]
	s_add_i32 s6, s56, -1
	v_mov_b32_e32 v4, v0
	v_mad_u64_u32 v[6:7], null, s6, s22, v[0:1]
	s_mov_b32 s39, 0
	v_ashrrev_i32_e32 v3, 31, v2
	v_ashrrev_i32_e32 v7, 31, v6
	v_lshlrev_b64 v[2:3], 3, v[2:3]
	v_lshlrev_b64 v[6:7], 3, v[6:7]
	v_add_co_u32 v2, vcc_lo, s51, v2
	v_add_co_ci_u32_e64 v3, null, s52, v3, vcc_lo
	v_add_co_u32 v6, vcc_lo, s46, v6
	v_add_co_ci_u32_e64 v7, null, s47, v7, vcc_lo
	.p2align	6
.LBB3_67:                               ;   Parent Loop BB3_6 Depth=1
                                        ; =>  This Inner Loop Header: Depth=2
	global_load_dwordx2 v[8:9], v[2:3], off
	v_add_nc_u32_e32 v4, 0x100, v4
	v_add_co_u32 v2, vcc_lo, 0x800, v2
	v_add_co_ci_u32_e64 v3, null, 0, v3, vcc_lo
	v_cmp_gt_i32_e32 vcc_lo, v4, v1
	s_or_b32 s39, vcc_lo, s39
	s_waitcnt vmcnt(0)
	global_store_dwordx2 v[6:7], v[8:9], off
	v_add_co_u32 v6, s6, 0x800, v6
	v_add_co_ci_u32_e64 v7, null, 0, v7, s6
	s_andn2_b32 exec_lo, exec_lo, s39
	s_cbranch_execnz .LBB3_67
.LBB3_68:                               ;   in Loop: Header=BB3_6 Depth=1
	s_or_b32 exec_lo, exec_lo, s7
	v_sub_nc_u32_e32 v3, s10, v1
	s_mov_b32 s7, exec_lo
	v_cmpx_lt_i32_e64 v0, v3
	s_cbranch_execz .LBB3_71
; %bb.69:                               ;   in Loop: Header=BB3_6 Depth=1
	s_add_i32 s6, s56, -1
	v_add_nc_u32_e32 v2, v16, v1
	s_mul_i32 s6, s6, s22
	v_mov_b32_e32 v6, v0
	v_add_nc_u32_e32 v4, s6, v1
	s_mov_b32 s39, 0
	v_mad_u64_u32 v[1:2], null, s21, v2, v[1:2]
	v_add_nc_u32_e32 v4, 1, v4
	.p2align	6
.LBB3_70:                               ;   Parent Loop BB3_6 Depth=1
                                        ; =>  This Inner Loop Header: Depth=2
	v_ashrrev_i32_e32 v2, 31, v1
	v_add_nc_u32_e32 v9, v4, v6
	v_add_nc_u32_e32 v6, 0x100, v6
	v_lshlrev_b64 v[7:8], 3, v[1:2]
	v_ashrrev_i32_e32 v10, 31, v9
	v_add_nc_u32_e32 v1, s53, v1
	v_lshlrev_b64 v[9:10], 3, v[9:10]
	v_add_co_u32 v7, vcc_lo, s20, v7
	v_add_co_ci_u32_e64 v8, null, s33, v8, vcc_lo
	v_cmp_ge_i32_e32 vcc_lo, v6, v3
	v_add_co_u32 v9, s6, s46, v9
	global_load_dwordx2 v[7:8], v[7:8], off
	v_add_co_ci_u32_e64 v10, null, s47, v10, s6
	s_or_b32 s39, vcc_lo, s39
	s_waitcnt vmcnt(0)
	global_store_dwordx2 v[9:10], v[7:8], off
	s_andn2_b32 exec_lo, exec_lo, s39
	s_cbranch_execnz .LBB3_70
.LBB3_71:                               ;   in Loop: Header=BB3_6 Depth=1
	s_or_b32 exec_lo, exec_lo, s7
	s_andn2_b32 vcc_lo, exec_lo, s57
	s_mov_b32 s6, -1
	s_waitcnt_vscnt null, 0x0
	s_barrier
	buffer_gl0_inv
                                        ; implicit-def: $sgpr40
	s_cbranch_vccnz .LBB3_73
; %bb.72:                               ;   in Loop: Header=BB3_6 Depth=1
	s_add_i32 s6, s56, -1
	s_mul_i32 s40, s6, s22
	s_mov_b32 s6, 0
	s_ashr_i32 s41, s40, 31
.LBB3_73:                               ;   in Loop: Header=BB3_6 Depth=1
	s_andn2_b32 vcc_lo, exec_lo, s6
	s_cbranch_vccnz .LBB3_82
; %bb.74:                               ;   in Loop: Header=BB3_6 Depth=1
	s_add_i32 s6, s56, 1
	s_mul_i32 s6, s6, s22
	s_sub_i32 s40, s6, s50
	s_ashr_i32 s41, s40, 31
	s_and_saveexec_b32 s39, s5
	s_cbranch_execz .LBB3_81
; %bb.75:                               ;   in Loop: Header=BB3_6 Depth=1
	ds_read_b32 v1, v5 offset:3096
	s_add_i32 s60, s10, 1
	s_not_b32 s57, s10
	s_ashr_i32 s7, s6, 31
	s_mul_i32 s60, s60, s21
	s_lshl_b64 s[58:59], s[40:41], 3
	s_add_i32 s57, s22, s57
	s_lshl_b64 s[62:63], s[6:7], 3
	s_ashr_i32 s61, s60, 31
	s_add_u32 s7, s46, s58
	s_addc_u32 s58, s47, s59
	s_cmp_gt_i32 s57, 0
	s_cselect_b32 s59, -1, 0
	s_lshl_b64 s[60:61], s[60:61], 3
	s_waitcnt lgkmcnt(0)
	v_ashrrev_i32_e32 v2, 31, v1
	v_lshlrev_b64 v[1:2], 3, v[1:2]
	v_add_co_u32 v3, vcc_lo, s46, v1
	v_add_co_ci_u32_e64 v4, null, s47, v2, vcc_lo
	v_add_co_u32 v1, vcc_lo, v19, s60
	v_add_co_ci_u32_e64 v2, null, s61, v20, vcc_lo
	;; [unrolled: 2-line block ×3, first 2 shown]
	v_mov_b32_e32 v4, v0
	s_mov_b32 s60, 0
	s_branch .LBB3_77
.LBB3_76:                               ;   in Loop: Header=BB3_77 Depth=2
	v_lshlrev_b64 v[10:11], 3, v[4:5]
	v_add_nc_u32_e32 v4, 0x100, v4
	v_add_co_u32 v1, s6, 0x800, v1
	v_add_co_ci_u32_e64 v2, null, 0, v2, s6
	v_add_co_u32 v10, vcc_lo, s7, v10
	v_add_co_ci_u32_e64 v11, null, s58, v11, vcc_lo
	v_cmp_lt_i32_e32 vcc_lo, s10, v4
	global_load_dwordx2 v[12:13], v[10:11], off
	s_or_b32 s60, vcc_lo, s60
	s_waitcnt vmcnt(0)
	v_add_f64 v[8:9], v[12:13], -v[8:9]
	global_store_dwordx2 v[10:11], v[8:9], off
	s_andn2_b32 exec_lo, exec_lo, s60
	s_cbranch_execz .LBB3_81
.LBB3_77:                               ;   Parent Loop BB3_6 Depth=1
                                        ; =>  This Loop Header: Depth=2
                                        ;       Child Loop BB3_79 Depth 3
	v_mov_b32_e32 v8, 0
	v_mov_b32_e32 v9, 0
	s_andn2_b32 vcc_lo, exec_lo, s59
	s_cbranch_vccnz .LBB3_76
; %bb.78:                               ;   in Loop: Header=BB3_77 Depth=2
	v_mov_b32_e32 v11, v2
	v_mov_b32_e32 v13, v7
	v_mov_b32_e32 v10, v1
	v_mov_b32_e32 v12, v6
	s_mov_b32 s6, s57
	.p2align	6
.LBB3_79:                               ;   Parent Loop BB3_6 Depth=1
                                        ;     Parent Loop BB3_77 Depth=2
                                        ; =>    This Inner Loop Header: Depth=3
	global_load_dwordx2 v[14:15], v[10:11], off
	global_load_dwordx2 v[26:27], v[12:13], off
	v_add_co_u32 v12, vcc_lo, v12, s30
	v_add_co_ci_u32_e64 v13, null, s31, v13, vcc_lo
	v_add_co_u32 v10, vcc_lo, v10, s34
	v_add_co_ci_u32_e64 v11, null, s35, v11, vcc_lo
	s_add_i32 s6, s6, -1
	s_cmp_eq_u32 s6, 0
	s_waitcnt vmcnt(0)
	v_fma_f64 v[8:9], v[14:15], v[26:27], v[8:9]
	s_cbranch_scc0 .LBB3_79
	s_branch .LBB3_76
.LBB3_80:                               ;   in Loop: Header=BB3_6 Depth=1
	s_mov_b32 s5, -1
                                        ; implicit-def: $sgpr6
                                        ; implicit-def: $sgpr7
                                        ; implicit-def: $sgpr39
	s_branch .LBB3_208
.LBB3_81:                               ;   in Loop: Header=BB3_6 Depth=1
	s_or_b32 exec_lo, exec_lo, s39
	s_waitcnt_vscnt null, 0x0
	s_barrier
	buffer_gl0_inv
.LBB3_82:                               ;   in Loop: Header=BB3_6 Depth=1
	ds_read_b32 v3, v5 offset:3096
	v_mov_b32_e32 v1, 0
	v_mov_b32_e32 v2, 0
	v_bfrev_b32_e32 v6, -2
	s_mov_b32 s7, exec_lo
	s_waitcnt lgkmcnt(0)
	v_sub_nc_u32_e32 v7, s10, v3
	v_cmpx_lt_i32_e64 v0, v7
	s_cbranch_execz .LBB3_86
; %bb.83:                               ;   in Loop: Header=BB3_6 Depth=1
	v_ashrrev_i32_e32 v4, 31, v3
	s_lshl_b64 s[58:59], s[40:41], 3
	v_mov_b32_e32 v1, 0
	v_mov_b32_e32 v2, 0
	v_bfrev_b32_e32 v6, -2
	v_lshlrev_b64 v[3:4], 3, v[3:4]
	v_mov_b32_e32 v8, v0
	s_mov_b32 s39, 0
	v_add_co_u32 v3, vcc_lo, s58, v3
	v_add_co_ci_u32_e64 v4, null, s59, v4, vcc_lo
	v_add_co_u32 v3, vcc_lo, v23, v3
	v_add_co_ci_u32_e64 v4, null, v24, v4, vcc_lo
	.p2align	6
.LBB3_84:                               ;   Parent Loop BB3_6 Depth=1
                                        ; =>  This Inner Loop Header: Depth=2
	global_load_dwordx2 v[9:10], v[3:4], off
	v_cmp_eq_u32_e32 vcc_lo, 0x7fffffff, v6
	v_add_nc_u32_e32 v11, 1, v8
	v_add_nc_u32_e32 v8, 0x100, v8
	v_add_co_u32 v3, s6, 0x800, v3
	v_add_co_ci_u32_e64 v4, null, 0, v4, s6
	v_cmp_ge_i32_e64 s6, v8, v7
	s_waitcnt vmcnt(0)
	v_cmp_lt_f64_e64 s57, v[1:2], |v[9:10]|
	v_and_b32_e32 v10, 0x7fffffff, v10
	s_or_b32 vcc_lo, s57, vcc_lo
	s_or_b32 s39, s6, s39
	v_cndmask_b32_e32 v2, v2, v10, vcc_lo
	v_cndmask_b32_e32 v1, v1, v9, vcc_lo
	;; [unrolled: 1-line block ×3, first 2 shown]
	s_andn2_b32 exec_lo, exec_lo, s39
	s_cbranch_execnz .LBB3_84
; %bb.85:                               ;   in Loop: Header=BB3_6 Depth=1
	s_or_b32 exec_lo, exec_lo, s39
.LBB3_86:                               ;   in Loop: Header=BB3_6 Depth=1
	s_or_b32 exec_lo, exec_lo, s7
	v_cmp_gt_i32_e32 vcc_lo, 2, v7
	ds_write_b64 v17, v[1:2]
	ds_write_b32 v18, v6
	s_waitcnt lgkmcnt(0)
	s_barrier
	buffer_gl0_inv
	s_cbranch_vccnz .LBB3_123
; %bb.87:                               ;   in Loop: Header=BB3_6 Depth=1
	s_and_saveexec_b32 s7, s1
	s_cbranch_execz .LBB3_93
; %bb.88:                               ;   in Loop: Header=BB3_6 Depth=1
	ds_read_b64 v[3:4], v17 offset:1024
	ds_read_b32 v7, v18 offset:512
	s_mov_b32 s57, exec_lo
	s_waitcnt lgkmcnt(1)
	v_cmp_lt_f64_e64 s39, v[1:2], v[3:4]
	v_cmpx_nlt_f64_e32 v[1:2], v[3:4]
	s_cbranch_execz .LBB3_90
; %bb.89:                               ;   in Loop: Header=BB3_6 Depth=1
	v_cmp_eq_f64_e32 vcc_lo, v[1:2], v[3:4]
	s_waitcnt lgkmcnt(0)
	v_cmp_gt_i32_e64 s6, v6, v7
	s_andn2_b32 s39, s39, exec_lo
	s_and_b32 s6, vcc_lo, s6
	s_and_b32 s6, s6, exec_lo
	s_or_b32 s39, s39, s6
.LBB3_90:                               ;   in Loop: Header=BB3_6 Depth=1
	s_or_b32 exec_lo, exec_lo, s57
	s_and_saveexec_b32 s6, s39
	s_cbranch_execz .LBB3_92
; %bb.91:                               ;   in Loop: Header=BB3_6 Depth=1
	v_mov_b32_e32 v1, v3
	s_waitcnt lgkmcnt(0)
	v_mov_b32_e32 v6, v7
	v_mov_b32_e32 v2, v4
	ds_write_b64 v17, v[3:4]
	ds_write_b32 v18, v7
.LBB3_92:                               ;   in Loop: Header=BB3_6 Depth=1
	s_or_b32 exec_lo, exec_lo, s6
.LBB3_93:                               ;   in Loop: Header=BB3_6 Depth=1
	s_or_b32 exec_lo, exec_lo, s7
	s_waitcnt lgkmcnt(0)
	s_barrier
	buffer_gl0_inv
	s_and_saveexec_b32 s7, s2
	s_cbranch_execz .LBB3_99
; %bb.94:                               ;   in Loop: Header=BB3_6 Depth=1
	ds_read_b64 v[3:4], v17 offset:512
	ds_read_b32 v7, v18 offset:256
	s_mov_b32 s57, exec_lo
	s_waitcnt lgkmcnt(1)
	v_cmp_lt_f64_e64 s39, v[1:2], v[3:4]
	v_cmpx_nlt_f64_e32 v[1:2], v[3:4]
	s_cbranch_execz .LBB3_96
; %bb.95:                               ;   in Loop: Header=BB3_6 Depth=1
	v_cmp_eq_f64_e32 vcc_lo, v[1:2], v[3:4]
	s_waitcnt lgkmcnt(0)
	v_cmp_gt_i32_e64 s6, v6, v7
	s_andn2_b32 s39, s39, exec_lo
	s_and_b32 s6, vcc_lo, s6
	s_and_b32 s6, s6, exec_lo
	s_or_b32 s39, s39, s6
.LBB3_96:                               ;   in Loop: Header=BB3_6 Depth=1
	s_or_b32 exec_lo, exec_lo, s57
	s_and_saveexec_b32 s6, s39
	s_cbranch_execz .LBB3_98
; %bb.97:                               ;   in Loop: Header=BB3_6 Depth=1
	v_mov_b32_e32 v1, v3
	s_waitcnt lgkmcnt(0)
	v_mov_b32_e32 v6, v7
	v_mov_b32_e32 v2, v4
	ds_write_b64 v17, v[3:4]
	ds_write_b32 v18, v7
.LBB3_98:                               ;   in Loop: Header=BB3_6 Depth=1
	s_or_b32 exec_lo, exec_lo, s6
.LBB3_99:                               ;   in Loop: Header=BB3_6 Depth=1
	s_or_b32 exec_lo, exec_lo, s7
	s_waitcnt lgkmcnt(0)
	s_barrier
	buffer_gl0_inv
	s_and_saveexec_b32 s39, s3
	s_cbranch_execz .LBB3_122
; %bb.100:                              ;   in Loop: Header=BB3_6 Depth=1
	ds_read_b64 v[3:4], v17 offset:256
	ds_read_b32 v7, v18 offset:128
	s_mov_b32 s57, exec_lo
	s_waitcnt lgkmcnt(1)
	v_cmp_lt_f64_e64 s7, v[1:2], v[3:4]
	v_cmpx_nlt_f64_e32 v[1:2], v[3:4]
	s_cbranch_execz .LBB3_102
; %bb.101:                              ;   in Loop: Header=BB3_6 Depth=1
	v_cmp_eq_f64_e32 vcc_lo, v[1:2], v[3:4]
	s_waitcnt lgkmcnt(0)
	v_cmp_gt_i32_e64 s6, v6, v7
	s_andn2_b32 s7, s7, exec_lo
	s_and_b32 s6, vcc_lo, s6
	s_and_b32 s6, s6, exec_lo
	s_or_b32 s7, s7, s6
.LBB3_102:                              ;   in Loop: Header=BB3_6 Depth=1
	s_or_b32 exec_lo, exec_lo, s57
	s_and_saveexec_b32 s6, s7
	s_cbranch_execz .LBB3_104
; %bb.103:                              ;   in Loop: Header=BB3_6 Depth=1
	v_mov_b32_e32 v1, v3
	v_mov_b32_e32 v2, v4
	s_waitcnt lgkmcnt(0)
	v_mov_b32_e32 v6, v7
	ds_write_b64 v17, v[3:4]
	ds_write_b32 v18, v7
.LBB3_104:                              ;   in Loop: Header=BB3_6 Depth=1
	s_or_b32 exec_lo, exec_lo, s6
	ds_read_b64 v[3:4], v17 offset:128
	s_waitcnt lgkmcnt(1)
	ds_read_b32 v7, v18 offset:64
	s_mov_b32 s57, exec_lo
	s_waitcnt lgkmcnt(1)
	v_cmp_lt_f64_e64 s7, v[1:2], v[3:4]
	v_cmpx_nlt_f64_e32 v[1:2], v[3:4]
	s_cbranch_execz .LBB3_106
; %bb.105:                              ;   in Loop: Header=BB3_6 Depth=1
	v_cmp_eq_f64_e32 vcc_lo, v[1:2], v[3:4]
	s_waitcnt lgkmcnt(0)
	v_cmp_gt_i32_e64 s6, v6, v7
	s_andn2_b32 s7, s7, exec_lo
	s_and_b32 s6, vcc_lo, s6
	s_and_b32 s6, s6, exec_lo
	s_or_b32 s7, s7, s6
.LBB3_106:                              ;   in Loop: Header=BB3_6 Depth=1
	s_or_b32 exec_lo, exec_lo, s57
	s_and_saveexec_b32 s6, s7
	s_cbranch_execz .LBB3_108
; %bb.107:                              ;   in Loop: Header=BB3_6 Depth=1
	v_mov_b32_e32 v1, v3
	v_mov_b32_e32 v2, v4
	s_waitcnt lgkmcnt(0)
	v_mov_b32_e32 v6, v7
	ds_write_b64 v17, v[3:4]
	ds_write_b32 v18, v7
.LBB3_108:                              ;   in Loop: Header=BB3_6 Depth=1
	s_or_b32 exec_lo, exec_lo, s6
	ds_read_b64 v[3:4], v17 offset:64
	s_waitcnt lgkmcnt(1)
	;; [unrolled: 29-line block ×5, first 2 shown]
	ds_read_b32 v7, v18 offset:4
	s_waitcnt lgkmcnt(1)
	v_cmp_eq_f64_e32 vcc_lo, v[1:2], v[3:4]
	v_cmp_lt_f64_e64 s6, v[1:2], v[3:4]
	s_waitcnt lgkmcnt(0)
	v_cmp_gt_i32_e64 s7, v6, v7
	s_and_b32 s7, vcc_lo, s7
	s_or_b32 s6, s6, s7
	s_and_b32 exec_lo, exec_lo, s6
	s_cbranch_execz .LBB3_122
; %bb.121:                              ;   in Loop: Header=BB3_6 Depth=1
	ds_write_b64 v17, v[3:4]
	ds_write_b32 v18, v7
.LBB3_122:                              ;   in Loop: Header=BB3_6 Depth=1
	s_or_b32 exec_lo, exec_lo, s39
.LBB3_123:                              ;   in Loop: Header=BB3_6 Depth=1
	s_and_saveexec_b32 s6, s0
	s_cbranch_execz .LBB3_125
; %bb.124:                              ;   in Loop: Header=BB3_6 Depth=1
	ds_read_b64 v[1:2], v5
	s_waitcnt lgkmcnt(0)
	ds_write_b64 v5, v[1:2] offset:3088
.LBB3_125:                              ;   in Loop: Header=BB3_6 Depth=1
	s_or_b32 exec_lo, exec_lo, s6
	ds_read_b32 v7, v5 offset:3096
	s_waitcnt lgkmcnt(0)
	v_cmp_gt_i32_e32 vcc_lo, 1, v7
	s_cbranch_vccnz .LBB3_170
; %bb.126:                              ;   in Loop: Header=BB3_6 Depth=1
	v_mov_b32_e32 v1, 0
	v_mov_b32_e32 v2, 0
	v_bfrev_b32_e32 v6, -2
	s_mov_b32 s7, exec_lo
	v_cmpx_lt_i32_e64 v0, v7
	s_cbranch_execz .LBB3_130
; %bb.127:                              ;   in Loop: Header=BB3_6 Depth=1
	s_lshl_b64 s[58:59], s[40:41], 3
	v_mov_b32_e32 v1, 0
	v_add_co_u32 v3, vcc_lo, v21, s58
	v_add_co_ci_u32_e64 v4, null, s59, v22, vcc_lo
	v_mov_b32_e32 v2, 0
	v_bfrev_b32_e32 v6, -2
	v_mov_b32_e32 v8, v0
	s_mov_b32 s39, 0
	.p2align	6
.LBB3_128:                              ;   Parent Loop BB3_6 Depth=1
                                        ; =>  This Inner Loop Header: Depth=2
	global_load_dwordx2 v[9:10], v[3:4], off
	v_cmp_eq_u32_e32 vcc_lo, 0x7fffffff, v6
	v_add_nc_u32_e32 v11, 1, v8
	v_add_nc_u32_e32 v8, 0x100, v8
	v_add_co_u32 v3, s6, 0x800, v3
	v_add_co_ci_u32_e64 v4, null, 0, v4, s6
	v_cmp_ge_i32_e64 s6, v8, v7
	s_waitcnt vmcnt(0)
	v_cmp_lt_f64_e64 s41, v[1:2], |v[9:10]|
	v_and_b32_e32 v10, 0x7fffffff, v10
	s_or_b32 vcc_lo, s41, vcc_lo
	s_or_b32 s39, s6, s39
	v_cndmask_b32_e32 v2, v2, v10, vcc_lo
	v_cndmask_b32_e32 v1, v1, v9, vcc_lo
	v_cndmask_b32_e32 v6, v6, v11, vcc_lo
	s_andn2_b32 exec_lo, exec_lo, s39
	s_cbranch_execnz .LBB3_128
; %bb.129:                              ;   in Loop: Header=BB3_6 Depth=1
	s_or_b32 exec_lo, exec_lo, s39
.LBB3_130:                              ;   in Loop: Header=BB3_6 Depth=1
	s_or_b32 exec_lo, exec_lo, s7
	v_cmp_eq_u32_e32 vcc_lo, 1, v7
	ds_write_b64 v17, v[1:2]
	ds_write_b32 v18, v6
	s_waitcnt lgkmcnt(0)
	s_barrier
	buffer_gl0_inv
	s_cbranch_vccnz .LBB3_167
; %bb.131:                              ;   in Loop: Header=BB3_6 Depth=1
	s_and_saveexec_b32 s7, s1
	s_cbranch_execz .LBB3_137
; %bb.132:                              ;   in Loop: Header=BB3_6 Depth=1
	ds_read_b64 v[3:4], v17 offset:1024
	ds_read_b32 v7, v18 offset:512
	s_mov_b32 s41, exec_lo
	s_waitcnt lgkmcnt(1)
	v_cmp_lt_f64_e64 s39, v[1:2], v[3:4]
	v_cmpx_nlt_f64_e32 v[1:2], v[3:4]
	s_cbranch_execz .LBB3_134
; %bb.133:                              ;   in Loop: Header=BB3_6 Depth=1
	v_cmp_eq_f64_e32 vcc_lo, v[1:2], v[3:4]
	s_waitcnt lgkmcnt(0)
	v_cmp_gt_i32_e64 s6, v6, v7
	s_andn2_b32 s39, s39, exec_lo
	s_and_b32 s6, vcc_lo, s6
	s_and_b32 s6, s6, exec_lo
	s_or_b32 s39, s39, s6
.LBB3_134:                              ;   in Loop: Header=BB3_6 Depth=1
	s_or_b32 exec_lo, exec_lo, s41
	s_and_saveexec_b32 s6, s39
	s_cbranch_execz .LBB3_136
; %bb.135:                              ;   in Loop: Header=BB3_6 Depth=1
	v_mov_b32_e32 v1, v3
	s_waitcnt lgkmcnt(0)
	v_mov_b32_e32 v6, v7
	v_mov_b32_e32 v2, v4
	ds_write_b64 v17, v[3:4]
	ds_write_b32 v18, v7
.LBB3_136:                              ;   in Loop: Header=BB3_6 Depth=1
	s_or_b32 exec_lo, exec_lo, s6
.LBB3_137:                              ;   in Loop: Header=BB3_6 Depth=1
	s_or_b32 exec_lo, exec_lo, s7
	s_waitcnt lgkmcnt(0)
	s_barrier
	buffer_gl0_inv
	s_and_saveexec_b32 s7, s2
	s_cbranch_execz .LBB3_143
; %bb.138:                              ;   in Loop: Header=BB3_6 Depth=1
	ds_read_b64 v[3:4], v17 offset:512
	ds_read_b32 v7, v18 offset:256
	s_mov_b32 s41, exec_lo
	s_waitcnt lgkmcnt(1)
	v_cmp_lt_f64_e64 s39, v[1:2], v[3:4]
	v_cmpx_nlt_f64_e32 v[1:2], v[3:4]
	s_cbranch_execz .LBB3_140
; %bb.139:                              ;   in Loop: Header=BB3_6 Depth=1
	v_cmp_eq_f64_e32 vcc_lo, v[1:2], v[3:4]
	s_waitcnt lgkmcnt(0)
	v_cmp_gt_i32_e64 s6, v6, v7
	s_andn2_b32 s39, s39, exec_lo
	s_and_b32 s6, vcc_lo, s6
	s_and_b32 s6, s6, exec_lo
	s_or_b32 s39, s39, s6
.LBB3_140:                              ;   in Loop: Header=BB3_6 Depth=1
	s_or_b32 exec_lo, exec_lo, s41
	s_and_saveexec_b32 s6, s39
	s_cbranch_execz .LBB3_142
; %bb.141:                              ;   in Loop: Header=BB3_6 Depth=1
	v_mov_b32_e32 v1, v3
	s_waitcnt lgkmcnt(0)
	v_mov_b32_e32 v6, v7
	v_mov_b32_e32 v2, v4
	ds_write_b64 v17, v[3:4]
	ds_write_b32 v18, v7
.LBB3_142:                              ;   in Loop: Header=BB3_6 Depth=1
	s_or_b32 exec_lo, exec_lo, s6
.LBB3_143:                              ;   in Loop: Header=BB3_6 Depth=1
	s_or_b32 exec_lo, exec_lo, s7
	s_waitcnt lgkmcnt(0)
	s_barrier
	buffer_gl0_inv
	s_and_saveexec_b32 s39, s3
	s_cbranch_execz .LBB3_166
; %bb.144:                              ;   in Loop: Header=BB3_6 Depth=1
	ds_read_b64 v[3:4], v17 offset:256
	ds_read_b32 v7, v18 offset:128
	s_mov_b32 s41, exec_lo
	s_waitcnt lgkmcnt(1)
	v_cmp_lt_f64_e64 s7, v[1:2], v[3:4]
	v_cmpx_nlt_f64_e32 v[1:2], v[3:4]
	s_cbranch_execz .LBB3_146
; %bb.145:                              ;   in Loop: Header=BB3_6 Depth=1
	v_cmp_eq_f64_e32 vcc_lo, v[1:2], v[3:4]
	s_waitcnt lgkmcnt(0)
	v_cmp_gt_i32_e64 s6, v6, v7
	s_andn2_b32 s7, s7, exec_lo
	s_and_b32 s6, vcc_lo, s6
	s_and_b32 s6, s6, exec_lo
	s_or_b32 s7, s7, s6
.LBB3_146:                              ;   in Loop: Header=BB3_6 Depth=1
	s_or_b32 exec_lo, exec_lo, s41
	s_and_saveexec_b32 s6, s7
	s_cbranch_execz .LBB3_148
; %bb.147:                              ;   in Loop: Header=BB3_6 Depth=1
	v_mov_b32_e32 v1, v3
	v_mov_b32_e32 v2, v4
	s_waitcnt lgkmcnt(0)
	v_mov_b32_e32 v6, v7
	ds_write_b64 v17, v[3:4]
	ds_write_b32 v18, v7
.LBB3_148:                              ;   in Loop: Header=BB3_6 Depth=1
	s_or_b32 exec_lo, exec_lo, s6
	ds_read_b64 v[3:4], v17 offset:128
	s_waitcnt lgkmcnt(1)
	ds_read_b32 v7, v18 offset:64
	s_mov_b32 s41, exec_lo
	s_waitcnt lgkmcnt(1)
	v_cmp_lt_f64_e64 s7, v[1:2], v[3:4]
	v_cmpx_nlt_f64_e32 v[1:2], v[3:4]
	s_cbranch_execz .LBB3_150
; %bb.149:                              ;   in Loop: Header=BB3_6 Depth=1
	v_cmp_eq_f64_e32 vcc_lo, v[1:2], v[3:4]
	s_waitcnt lgkmcnt(0)
	v_cmp_gt_i32_e64 s6, v6, v7
	s_andn2_b32 s7, s7, exec_lo
	s_and_b32 s6, vcc_lo, s6
	s_and_b32 s6, s6, exec_lo
	s_or_b32 s7, s7, s6
.LBB3_150:                              ;   in Loop: Header=BB3_6 Depth=1
	s_or_b32 exec_lo, exec_lo, s41
	s_and_saveexec_b32 s6, s7
	s_cbranch_execz .LBB3_152
; %bb.151:                              ;   in Loop: Header=BB3_6 Depth=1
	v_mov_b32_e32 v1, v3
	v_mov_b32_e32 v2, v4
	s_waitcnt lgkmcnt(0)
	v_mov_b32_e32 v6, v7
	ds_write_b64 v17, v[3:4]
	ds_write_b32 v18, v7
.LBB3_152:                              ;   in Loop: Header=BB3_6 Depth=1
	s_or_b32 exec_lo, exec_lo, s6
	ds_read_b64 v[3:4], v17 offset:64
	s_waitcnt lgkmcnt(1)
	;; [unrolled: 29-line block ×5, first 2 shown]
	ds_read_b32 v7, v18 offset:4
	s_waitcnt lgkmcnt(1)
	v_cmp_eq_f64_e32 vcc_lo, v[1:2], v[3:4]
	v_cmp_lt_f64_e64 s6, v[1:2], v[3:4]
	s_waitcnt lgkmcnt(0)
	v_cmp_gt_i32_e64 s7, v6, v7
	s_and_b32 s7, vcc_lo, s7
	s_or_b32 s6, s6, s7
	s_and_b32 exec_lo, exec_lo, s6
	s_cbranch_execz .LBB3_166
; %bb.165:                              ;   in Loop: Header=BB3_6 Depth=1
	ds_write_b64 v17, v[3:4]
	ds_write_b32 v18, v7
.LBB3_166:                              ;   in Loop: Header=BB3_6 Depth=1
	s_or_b32 exec_lo, exec_lo, s39
.LBB3_167:                              ;   in Loop: Header=BB3_6 Depth=1
	s_and_saveexec_b32 s6, s0
	s_cbranch_execz .LBB3_169
; %bb.168:                              ;   in Loop: Header=BB3_6 Depth=1
	ds_read_b64 v[1:2], v5 offset:3088
	ds_read_b64 v[3:4], v5
	s_waitcnt lgkmcnt(0)
	v_cmp_lt_f64_e32 vcc_lo, v[1:2], v[3:4]
	v_cndmask_b32_e32 v2, v2, v4, vcc_lo
	v_cndmask_b32_e32 v1, v1, v3, vcc_lo
	ds_write_b64 v5, v[1:2] offset:3088
.LBB3_169:                              ;   in Loop: Header=BB3_6 Depth=1
	s_or_b32 exec_lo, exec_lo, s6
.LBB3_170:                              ;   in Loop: Header=BB3_6 Depth=1
	s_waitcnt lgkmcnt(0)
	s_barrier
	buffer_gl0_inv
	ds_read_b128 v[6:9], v5 offset:3072
	ds_read_b64 v[1:2], v5 offset:3088
	s_waitcnt lgkmcnt(0)
	v_div_scale_f64 v[3:4], null, v[1:2], v[1:2], v[8:9]
	v_rcp_f64_e32 v[10:11], v[3:4]
	v_fma_f64 v[12:13], -v[3:4], v[10:11], 1.0
	v_fma_f64 v[10:11], v[10:11], v[12:13], v[10:11]
	v_fma_f64 v[12:13], -v[3:4], v[10:11], 1.0
	v_fma_f64 v[10:11], v[10:11], v[12:13], v[10:11]
	v_div_scale_f64 v[12:13], vcc_lo, v[8:9], v[1:2], v[8:9]
	v_mul_f64 v[14:15], v[12:13], v[10:11]
	v_fma_f64 v[3:4], -v[3:4], v[14:15], v[12:13]
	v_div_fmas_f64 v[3:4], v[3:4], v[10:11], v[14:15]
	v_mul_f64 v[10:11], v[8:9], s[36:37]
	v_div_fixup_f64 v[3:4], v[3:4], v[1:2], v[8:9]
	v_mul_f64 v[3:4], v[10:11], v[3:4]
	v_cmp_ge_f64_e32 vcc_lo, v[6:7], v[3:4]
	s_cbranch_vccnz .LBB3_176
; %bb.171:                              ;   in Loop: Header=BB3_6 Depth=1
	ds_read_b32 v6, v5 offset:3096
	v_mul_f64 v[1:2], v[1:2], s[36:37]
	s_waitcnt lgkmcnt(0)
	v_readfirstlane_b32 s6, v6
	s_add_i32 s6, s6, s40
	s_ashr_i32 s7, s6, 31
	s_lshl_b64 s[6:7], s[6:7], 3
	s_add_u32 s6, s46, s6
	s_addc_u32 s7, s47, s7
	global_load_dwordx2 v[3:4], v5, s[6:7]
	v_readfirstlane_b32 s6, v6
	s_waitcnt vmcnt(0)
	v_cmp_nge_f64_e64 s7, |v[3:4]|, v[1:2]
	s_and_b32 vcc_lo, exec_lo, s7
	s_cbranch_vccnz .LBB3_217
; %bb.172:                              ;   in Loop: Header=BB3_6 Depth=1
	s_and_saveexec_b32 s7, s5
	s_cbranch_execz .LBB3_175
; %bb.173:                              ;   in Loop: Header=BB3_6 Depth=1
	v_add_nc_u32_e32 v1, s38, v0
	v_add_nc_u32_e32 v3, s40, v0
	v_mov_b32_e32 v6, v0
	s_mov_b32 s39, 0
	v_ashrrev_i32_e32 v2, 31, v1
	v_ashrrev_i32_e32 v4, 31, v3
	v_lshlrev_b64 v[1:2], 3, v[1:2]
	v_lshlrev_b64 v[3:4], 3, v[3:4]
	v_add_co_u32 v1, vcc_lo, s46, v1
	v_add_co_ci_u32_e64 v2, null, s47, v2, vcc_lo
	v_add_co_u32 v3, vcc_lo, s46, v3
	v_add_co_ci_u32_e64 v4, null, s47, v4, vcc_lo
	.p2align	6
.LBB3_174:                              ;   Parent Loop BB3_6 Depth=1
                                        ; =>  This Inner Loop Header: Depth=2
	global_load_dwordx2 v[7:8], v[3:4], off
	v_add_nc_u32_e32 v6, 0x100, v6
	v_add_co_u32 v3, vcc_lo, 0x800, v3
	v_add_co_ci_u32_e64 v4, null, 0, v4, vcc_lo
	v_cmp_lt_i32_e32 vcc_lo, s10, v6
	s_or_b32 s39, vcc_lo, s39
	s_waitcnt vmcnt(0)
	global_store_dwordx2 v[1:2], v[7:8], off
	v_add_co_u32 v1, s5, 0x800, v1
	v_add_co_ci_u32_e64 v2, null, 0, v2, s5
	s_andn2_b32 exec_lo, exec_lo, s39
	s_cbranch_execnz .LBB3_174
.LBB3_175:                              ;   in Loop: Header=BB3_6 Depth=1
	s_or_b32 exec_lo, exec_lo, s7
	s_mov_b32 s7, -1
	s_mov_b32 s40, -1
	s_waitcnt_vscnt null, 0x0
	s_barrier
	buffer_gl0_inv
	s_add_i32 s39, s40, s10
	s_add_i32 s41, s39, 1
	s_cmp_eq_u32 s6, s41
	s_cbranch_scc0 .LBB3_177
	s_branch .LBB3_192
.LBB3_176:                              ;   in Loop: Header=BB3_6 Depth=1
	s_mov_b32 s7, -1
	s_mov_b32 s40, -1
	s_mov_b32 s6, s10
	s_add_i32 s39, s40, s10
	s_add_i32 s41, s39, 1
	s_cmp_eq_u32 s6, s41
	s_cbranch_scc1 .LBB3_192
.LBB3_177:                              ;   in Loop: Header=BB3_6 Depth=1
	s_and_saveexec_b32 s5, s0
	s_cbranch_execz .LBB3_179
; %bb.178:                              ;   in Loop: Header=BB3_6 Depth=1
	s_mul_i32 s58, s41, s49
	s_ashr_i32 s59, s58, 31
	s_lshl_b64 s[58:59], s[58:59], 3
	s_add_u32 s58, s20, s58
	s_addc_u32 s59, s33, s59
	global_load_dwordx2 v[1:2], v5, s[58:59]
	s_mul_i32 s58, s6, s49
	s_ashr_i32 s59, s58, 31
	s_lshl_b64 s[58:59], s[58:59], 3
	s_add_u32 s58, s20, s58
	s_addc_u32 s59, s33, s59
	s_waitcnt vmcnt(0)
	global_store_dwordx2 v5, v[1:2], s[58:59]
.LBB3_179:                              ;   in Loop: Header=BB3_6 Depth=1
	s_or_b32 exec_lo, exec_lo, s5
	s_sub_i32 s57, s39, s6
	s_mov_b32 s58, exec_lo
	v_cmpx_gt_i32_e64 s57, v0
	s_cbranch_execz .LBB3_182
; %bb.180:                              ;   in Loop: Header=BB3_6 Depth=1
	v_add_nc_u32_e32 v1, s6, v16
	s_mul_i32 s5, s41, s21
	v_mov_b32_e32 v3, v0
	s_add_i32 s59, s6, s5
	s_mov_b32 s60, 0
	v_mad_u64_u32 v[1:2], null, s21, v1, s[6:7]
	s_add_i32 s59, s59, 1
	.p2align	6
.LBB3_181:                              ;   Parent Loop BB3_6 Depth=1
                                        ; =>  This Inner Loop Header: Depth=2
	v_add_nc_u32_e32 v6, s59, v3
	v_ashrrev_i32_e32 v2, 31, v1
	v_add_nc_u32_e32 v3, 0x100, v3
	v_ashrrev_i32_e32 v7, 31, v6
	v_lshlrev_b64 v[8:9], 3, v[1:2]
	v_add_nc_u32_e32 v1, s53, v1
	v_lshlrev_b64 v[6:7], 3, v[6:7]
	v_add_co_u32 v8, s5, s20, v8
	v_add_co_ci_u32_e64 v9, null, s33, v9, s5
	v_add_co_u32 v6, vcc_lo, s20, v6
	v_add_co_ci_u32_e64 v7, null, s33, v7, vcc_lo
	v_cmp_le_i32_e32 vcc_lo, s57, v3
	global_load_dwordx2 v[6:7], v[6:7], off
	s_or_b32 s60, vcc_lo, s60
	s_waitcnt vmcnt(0)
	global_store_dwordx2 v[8:9], v[6:7], off
	s_andn2_b32 exec_lo, exec_lo, s60
	s_cbranch_execnz .LBB3_181
.LBB3_182:                              ;   in Loop: Header=BB3_6 Depth=1
	s_or_b32 exec_lo, exec_lo, s58
	s_mov_b32 s57, exec_lo
	v_cmpx_gt_i32_e64 s6, v0
	s_cbranch_execz .LBB3_185
; %bb.183:                              ;   in Loop: Header=BB3_6 Depth=1
	v_mad_u64_u32 v[1:2], null, s6, s21, v[0:1]
	v_mov_b32_e32 v6, v0
	s_mov_b32 s58, 0
	v_mad_u64_u32 v[3:4], null, s41, s21, v[0:1]
	v_ashrrev_i32_e32 v2, 31, v1
	v_lshlrev_b64 v[1:2], 3, v[1:2]
	v_ashrrev_i32_e32 v4, 31, v3
	v_add_co_u32 v1, vcc_lo, s51, v1
	v_lshlrev_b64 v[3:4], 3, v[3:4]
	v_add_co_ci_u32_e64 v2, null, s52, v2, vcc_lo
	v_add_co_u32 v3, vcc_lo, s51, v3
	v_add_co_ci_u32_e64 v4, null, s52, v4, vcc_lo
	.p2align	6
.LBB3_184:                              ;   Parent Loop BB3_6 Depth=1
                                        ; =>  This Inner Loop Header: Depth=2
	global_load_dwordx2 v[7:8], v[3:4], off
	v_add_nc_u32_e32 v6, 0x100, v6
	v_add_co_u32 v3, vcc_lo, 0x800, v3
	v_add_co_ci_u32_e64 v4, null, 0, v4, vcc_lo
	v_cmp_le_i32_e32 vcc_lo, s6, v6
	s_or_b32 s58, vcc_lo, s58
	s_waitcnt vmcnt(0)
	global_store_dwordx2 v[1:2], v[7:8], off
	v_add_co_u32 v1, s5, 0x800, v1
	v_add_co_ci_u32_e64 v2, null, 0, v2, s5
	s_andn2_b32 exec_lo, exec_lo, s58
	s_cbranch_execnz .LBB3_184
.LBB3_185:                              ;   in Loop: Header=BB3_6 Depth=1
	s_or_b32 exec_lo, exec_lo, s57
	s_not_b32 s5, s10
	s_mov_b32 s57, exec_lo
	s_add_i32 s5, s22, s5
	s_waitcnt_vscnt null, 0x0
	s_barrier
	buffer_gl0_inv
	v_cmpx_gt_i32_e64 s5, v0
	s_cbranch_execz .LBB3_188
; %bb.186:                              ;   in Loop: Header=BB3_6 Depth=1
	v_add_nc_u32_e32 v1, s10, v16
	v_mov_b32_e32 v2, v0
	s_ashr_i32 s58, s39, 31
	s_mov_b32 s59, 0
	v_mul_lo_u32 v1, s21, v1
	s_inst_prefetch 0x1
	.p2align	6
.LBB3_187:                              ;   Parent Loop BB3_6 Depth=1
                                        ; =>  This Inner Loop Header: Depth=2
	v_add_nc_u32_e32 v3, s6, v1
	v_ashrrev_i32_e32 v7, 31, v1
	v_add_co_u32 v6, vcc_lo, v1, s39
	v_add_nc_u32_e32 v2, 0x100, v2
	v_ashrrev_i32_e32 v4, 31, v3
	v_add_co_ci_u32_e64 v7, null, s58, v7, vcc_lo
	v_add_nc_u32_e32 v1, s53, v1
	v_lshlrev_b64 v[3:4], 3, v[3:4]
	v_lshlrev_b64 v[6:7], 3, v[6:7]
	v_add_co_u32 v3, vcc_lo, s20, v3
	v_add_co_ci_u32_e64 v4, null, s33, v4, vcc_lo
	v_add_co_u32 v6, vcc_lo, s20, v6
	v_add_co_ci_u32_e64 v7, null, s33, v7, vcc_lo
	s_clause 0x1
	global_load_dwordx2 v[8:9], v[3:4], off
	global_load_dwordx2 v[10:11], v[6:7], off offset:8
	v_cmp_le_i32_e32 vcc_lo, s5, v2
	s_waitcnt vmcnt(1)
	global_store_dwordx2 v[6:7], v[8:9], off offset:8
	s_waitcnt vmcnt(0)
	global_store_dwordx2 v[3:4], v[10:11], off
	s_or_b32 s59, vcc_lo, s59
	s_andn2_b32 exec_lo, exec_lo, s59
	s_cbranch_execnz .LBB3_187
.LBB3_188:                              ;   in Loop: Header=BB3_6 Depth=1
	s_inst_prefetch 0x2
	s_or_b32 exec_lo, exec_lo, s57
	s_sub_i32 s5, s22, s41
	s_mov_b32 s41, exec_lo
	v_cmpx_gt_i32_e64 s5, v0
	s_cbranch_execz .LBB3_191
; %bb.189:                              ;   in Loop: Header=BB3_6 Depth=1
	v_add3_u32 v1, s10, s40, v25
	v_mov_b32_e32 v2, v0
	s_ashr_i32 s40, s39, 31
	s_mov_b32 s57, 0
	v_mul_lo_u32 v1, s22, v1
	s_inst_prefetch 0x1
	.p2align	6
.LBB3_190:                              ;   Parent Loop BB3_6 Depth=1
                                        ; =>  This Inner Loop Header: Depth=2
	v_add_nc_u32_e32 v3, s6, v1
	v_ashrrev_i32_e32 v7, 31, v1
	v_add_co_u32 v6, vcc_lo, v1, s39
	v_add_nc_u32_e32 v2, 0x100, v2
	v_ashrrev_i32_e32 v4, 31, v3
	v_add_co_ci_u32_e64 v7, null, s40, v7, vcc_lo
	v_add_nc_u32_e32 v1, s54, v1
	v_lshlrev_b64 v[3:4], 3, v[3:4]
	v_lshlrev_b64 v[6:7], 3, v[6:7]
	v_add_co_u32 v3, vcc_lo, s46, v3
	v_add_co_ci_u32_e64 v4, null, s47, v4, vcc_lo
	v_add_co_u32 v6, vcc_lo, s46, v6
	v_add_co_ci_u32_e64 v7, null, s47, v7, vcc_lo
	s_clause 0x1
	global_load_dwordx2 v[8:9], v[3:4], off
	global_load_dwordx2 v[10:11], v[6:7], off offset:8
	v_cmp_le_i32_e32 vcc_lo, s5, v2
	s_waitcnt vmcnt(1)
	global_store_dwordx2 v[6:7], v[8:9], off offset:8
	s_waitcnt vmcnt(0)
	global_store_dwordx2 v[3:4], v[10:11], off
	s_or_b32 s57, vcc_lo, s57
	s_andn2_b32 exec_lo, exec_lo, s57
	s_cbranch_execnz .LBB3_190
.LBB3_191:                              ;   in Loop: Header=BB3_6 Depth=1
	s_inst_prefetch 0x2
	s_or_b32 exec_lo, exec_lo, s41
	s_waitcnt_vscnt null, 0x0
	s_barrier
	buffer_gl0_inv
.LBB3_192:                              ;   in Loop: Header=BB3_6 Depth=1
	s_xor_b32 s5, s7, -1
	s_mov_b32 s39, -1
	s_and_b32 vcc_lo, exec_lo, s5
	s_cbranch_vccz .LBB3_201
; %bb.193:                              ;   in Loop: Header=BB3_6 Depth=1
	s_cmp_lt_i32 s10, 2
	s_cbranch_scc1 .LBB3_198
; %bb.194:                              ;   in Loop: Header=BB3_6 Depth=1
	s_add_i32 s7, s10, -2
	s_mov_b32 s39, exec_lo
	v_cmpx_ge_i32_e64 s7, v0
	s_cbranch_execz .LBB3_197
; %bb.195:                              ;   in Loop: Header=BB3_6 Depth=1
	s_add_i32 s57, s10, -1
	s_ashr_i32 s5, s38, 31
	s_ashr_i32 s61, s10, 31
	s_add_u32 s40, s38, s10
	s_addc_u32 s41, s5, s61
	s_lshl_b64 s[40:41], s[40:41], 3
	s_add_u32 s40, s46, s40
	s_addc_u32 s41, s47, s41
	s_add_i32 s58, s38, s10
	s_ashr_i32 s59, s58, 31
	s_lshl_b64 s[58:59], s[58:59], 3
	s_add_u32 s58, s46, s58
	s_addc_u32 s59, s47, s59
	s_add_i32 s5, s56, -1
	s_clause 0x1
	global_load_dwordx2 v[6:7], v5, s[40:41] offset:-8
	global_load_dwordx2 v[1:2], v5, s[58:59]
	s_mul_i32 s62, s5, s22
	s_ashr_i32 s5, s62, 31
	s_add_u32 s60, s62, s10
	s_addc_u32 s61, s5, s61
	s_lshl_b64 s[60:61], s[60:61], 3
	s_add_u32 s40, s46, s60
	s_addc_u32 s41, s47, s61
	global_load_dwordx2 v[3:4], v5, s[40:41] offset:-8
	s_mov_b32 s40, 0
	s_waitcnt vmcnt(1)
	v_div_scale_f64 v[8:9], null, v[6:7], v[6:7], v[1:2]
	v_div_scale_f64 v[30:31], vcc_lo, v[1:2], v[6:7], v[1:2]
	s_waitcnt vmcnt(0)
	v_div_scale_f64 v[10:11], null, v[6:7], v[6:7], v[3:4]
	v_rcp_f64_e32 v[12:13], v[8:9]
	v_rcp_f64_e32 v[14:15], v[10:11]
	v_fma_f64 v[26:27], -v[8:9], v[12:13], 1.0
	v_fma_f64 v[28:29], -v[10:11], v[14:15], 1.0
	v_fma_f64 v[12:13], v[12:13], v[26:27], v[12:13]
	v_fma_f64 v[14:15], v[14:15], v[28:29], v[14:15]
	v_fma_f64 v[26:27], -v[8:9], v[12:13], 1.0
	v_fma_f64 v[28:29], -v[10:11], v[14:15], 1.0
	v_fma_f64 v[12:13], v[12:13], v[26:27], v[12:13]
	v_div_scale_f64 v[26:27], s5, v[3:4], v[6:7], v[3:4]
	v_fma_f64 v[14:15], v[14:15], v[28:29], v[14:15]
	v_mul_f64 v[28:29], v[30:31], v[12:13]
	v_mul_f64 v[32:33], v[26:27], v[14:15]
	v_fma_f64 v[8:9], -v[8:9], v[28:29], v[30:31]
	v_fma_f64 v[10:11], -v[10:11], v[32:33], v[26:27]
	v_add_nc_u32_e32 v26, s62, v0
	v_ashrrev_i32_e32 v27, 31, v26
	v_div_fmas_f64 v[8:9], v[8:9], v[12:13], v[28:29]
	s_mov_b32 vcc_lo, s5
	v_lshlrev_b64 v[26:27], 3, v[26:27]
	v_div_fmas_f64 v[10:11], v[10:11], v[14:15], v[32:33]
	v_div_fixup_f64 v[1:2], v[8:9], v[6:7], v[1:2]
	v_div_fixup_f64 v[3:4], v[10:11], v[6:7], v[3:4]
	v_fma_f64 v[8:9], v[1:2], v[3:4], -1.0
	v_mul_f64 v[6:7], v[6:7], v[8:9]
	v_div_scale_f64 v[8:9], null, v[6:7], v[6:7], 1.0
	v_div_scale_f64 v[14:15], vcc_lo, 1.0, v[6:7], 1.0
	v_rcp_f64_e32 v[10:11], v[8:9]
	v_fma_f64 v[12:13], -v[8:9], v[10:11], 1.0
	v_fma_f64 v[10:11], v[10:11], v[12:13], v[10:11]
	v_fma_f64 v[12:13], -v[8:9], v[10:11], 1.0
	v_fma_f64 v[10:11], v[10:11], v[12:13], v[10:11]
	v_mul_f64 v[12:13], v[14:15], v[10:11]
	v_fma_f64 v[8:9], -v[8:9], v[12:13], v[14:15]
	v_add_nc_u32_e32 v14, s38, v0
	v_ashrrev_i32_e32 v15, 31, v14
	v_lshlrev_b64 v[14:15], 3, v[14:15]
	v_div_fmas_f64 v[8:9], v[8:9], v[10:11], v[12:13]
	v_mad_u64_u32 v[10:11], null, s10, s21, v[0:1]
	v_mad_u64_u32 v[12:13], null, s57, s21, v[0:1]
	v_ashrrev_i32_e32 v11, 31, v10
	v_ashrrev_i32_e32 v13, 31, v12
	v_lshlrev_b64 v[10:11], 3, v[10:11]
	v_lshlrev_b64 v[12:13], 3, v[12:13]
	v_div_fixup_f64 v[6:7], v[8:9], v[6:7], 1.0
	v_add_co_u32 v8, vcc_lo, s51, v10
	v_add_co_ci_u32_e64 v9, null, s52, v11, vcc_lo
	v_add_co_u32 v10, vcc_lo, s51, v12
	v_add_co_ci_u32_e64 v11, null, s52, v13, vcc_lo
	;; [unrolled: 2-line block ×4, first 2 shown]
	v_mov_b32_e32 v26, v0
	s_inst_prefetch 0x1
	.p2align	6
.LBB3_196:                              ;   Parent Loop BB3_6 Depth=1
                                        ; =>  This Inner Loop Header: Depth=2
	global_load_dwordx2 v[27:28], v[14:15], off
	global_load_dwordx2 v[29:30], v[12:13], off
	v_add_nc_u32_e32 v26, 0x100, v26
	v_cmp_lt_i32_e32 vcc_lo, s7, v26
	s_or_b32 s40, vcc_lo, s40
	s_waitcnt vmcnt(0)
	v_fma_f64 v[27:28], v[1:2], v[27:28], -v[29:30]
	v_mul_f64 v[27:28], v[6:7], v[27:28]
	global_store_dwordx2 v[10:11], v[27:28], off
	global_load_dwordx2 v[27:28], v[12:13], off
	global_load_dwordx2 v[29:30], v[14:15], off
	v_add_co_u32 v10, s5, 0x800, v10
	v_add_co_ci_u32_e64 v11, null, 0, v11, s5
	v_add_co_u32 v12, s5, 0x800, v12
	v_add_co_ci_u32_e64 v13, null, 0, v13, s5
	v_add_co_u32 v14, s5, 0x800, v14
	v_add_co_ci_u32_e64 v15, null, 0, v15, s5
	s_waitcnt vmcnt(0)
	v_fma_f64 v[27:28], v[3:4], v[27:28], -v[29:30]
	v_mul_f64 v[27:28], v[6:7], v[27:28]
	global_store_dwordx2 v[8:9], v[27:28], off
	v_add_co_u32 v8, s5, 0x800, v8
	v_add_co_ci_u32_e64 v9, null, 0, v9, s5
	s_andn2_b32 exec_lo, exec_lo, s40
	s_cbranch_execnz .LBB3_196
.LBB3_197:                              ;   in Loop: Header=BB3_6 Depth=1
	s_inst_prefetch 0x2
	s_or_b32 exec_lo, exec_lo, s39
.LBB3_198:                              ;   in Loop: Header=BB3_6 Depth=1
	s_and_saveexec_b32 s5, s0
	s_cbranch_execz .LBB3_200
; %bb.199:                              ;   in Loop: Header=BB3_6 Depth=1
	s_add_i32 s7, s56, -1
	s_add_i32 s39, s10, -1
	s_mul_i32 s7, s7, s22
	s_ashr_i32 s58, s10, 31
	s_ashr_i32 s41, s7, 31
	s_add_u32 s40, s7, s10
	s_addc_u32 s41, s41, s58
	s_lshl_b64 s[40:41], s[40:41], 3
	s_add_u32 s40, s46, s40
	s_addc_u32 s41, s47, s41
	global_load_dwordx2 v[1:2], v5, s[40:41] offset:-8
	s_mul_i32 s40, s39, s49
	s_ashr_i32 s41, s40, 31
	s_lshl_b64 s[40:41], s[40:41], 3
	s_add_u32 s40, s20, s40
	s_addc_u32 s41, s33, s41
	s_ashr_i32 s7, s38, 31
	s_add_u32 s56, s38, s10
	s_addc_u32 s57, s7, s58
	s_mul_i32 s7, s10, s21
	s_lshl_b64 s[56:57], s[56:57], 3
	s_add_u32 s56, s46, s56
	s_addc_u32 s57, s47, s57
	s_ashr_i32 s39, s7, 31
	s_waitcnt vmcnt(0)
	global_store_dwordx2 v5, v[1:2], s[40:41]
	global_load_dwordx2 v[1:2], v5, s[56:57] offset:-8
	s_add_u32 s40, s10, s7
	s_addc_u32 s41, s58, s39
	s_lshl_b64 s[40:41], s[40:41], 3
	s_add_u32 s40, s20, s40
	s_addc_u32 s41, s33, s41
	s_add_i32 s56, s38, s10
	s_ashr_i32 s57, s56, 31
	s_lshl_b64 s[56:57], s[56:57], 3
	s_add_u32 s56, s46, s56
	s_addc_u32 s57, s47, s57
	s_waitcnt vmcnt(0)
	global_store_dwordx2 v5, v[1:2], s[40:41] offset:-8
	global_load_dwordx2 v[1:2], v5, s[56:57]
	s_add_i32 s40, s7, s10
	s_ashr_i32 s41, s40, 31
	s_lshl_b64 s[40:41], s[40:41], 3
	s_add_u32 s40, s20, s40
	s_addc_u32 s41, s33, s41
	s_waitcnt vmcnt(0)
	global_store_dwordx2 v5, v[1:2], s[40:41]
.LBB3_200:                              ;   in Loop: Header=BB3_6 Depth=1
	s_or_b32 exec_lo, exec_lo, s5
	s_mov_b32 s39, 0
	s_waitcnt_vscnt null, 0x0
	s_barrier
	buffer_gl0_inv
.LBB3_201:                              ;   in Loop: Header=BB3_6 Depth=1
	s_mov_b32 s5, 0
	s_mov_b32 s7, -2
	s_and_b32 vcc_lo, exec_lo, s39
	s_mov_b32 s39, 0
	s_cbranch_vccz .LBB3_208
; %bb.202:                              ;   in Loop: Header=BB3_6 Depth=1
	s_add_i32 s40, s38, s10
	s_ashr_i32 s41, s40, 31
	s_lshl_b64 s[40:41], s[40:41], 3
	s_add_u32 s40, s46, s40
	s_addc_u32 s41, s47, s41
	global_load_dwordx2 v[1:2], v5, s[40:41]
	s_and_saveexec_b32 s7, s0
	s_cbranch_execz .LBB3_204
; %bb.203:                              ;   in Loop: Header=BB3_6 Depth=1
	s_mul_i32 s40, s10, s49
	s_ashr_i32 s41, s40, 31
	s_lshl_b64 s[40:41], s[40:41], 3
	s_add_u32 s40, s20, s40
	s_addc_u32 s41, s33, s41
	s_waitcnt vmcnt(0)
	global_store_dwordx2 v5, v[1:2], s[40:41]
.LBB3_204:                              ;   in Loop: Header=BB3_6 Depth=1
	s_or_b32 exec_lo, exec_lo, s7
	s_and_saveexec_b32 s7, s4
	s_cbranch_execz .LBB3_207
; %bb.205:                              ;   in Loop: Header=BB3_6 Depth=1
	s_waitcnt vmcnt(0)
	v_div_scale_f64 v[3:4], null, v[1:2], v[1:2], 1.0
	v_rcp_f64_e32 v[6:7], v[3:4]
	v_fma_f64 v[8:9], -v[3:4], v[6:7], 1.0
	v_fma_f64 v[6:7], v[6:7], v[8:9], v[6:7]
	v_fma_f64 v[8:9], -v[3:4], v[6:7], 1.0
	v_fma_f64 v[6:7], v[6:7], v[8:9], v[6:7]
	v_div_scale_f64 v[8:9], vcc_lo, 1.0, v[1:2], 1.0
	v_mul_f64 v[10:11], v[8:9], v[6:7]
	v_fma_f64 v[3:4], -v[3:4], v[10:11], v[8:9]
	v_add_nc_u32_e32 v8, s38, v0
	s_mov_b32 s38, 0
	v_ashrrev_i32_e32 v9, 31, v8
	v_div_fmas_f64 v[3:4], v[3:4], v[6:7], v[10:11]
	v_mad_u64_u32 v[6:7], null, s10, s21, v[0:1]
	v_ashrrev_i32_e32 v7, 31, v6
	v_div_fixup_f64 v[1:2], v[3:4], v[1:2], 1.0
	v_lshlrev_b64 v[3:4], 3, v[6:7]
	v_lshlrev_b64 v[6:7], 3, v[8:9]
	v_mov_b32_e32 v8, v0
	v_add_co_u32 v3, vcc_lo, s51, v3
	v_add_co_ci_u32_e64 v4, null, s52, v4, vcc_lo
	v_add_co_u32 v6, vcc_lo, s46, v6
	v_add_co_ci_u32_e64 v7, null, s47, v7, vcc_lo
	.p2align	6
.LBB3_206:                              ;   Parent Loop BB3_6 Depth=1
                                        ; =>  This Inner Loop Header: Depth=2
	global_load_dwordx2 v[9:10], v[6:7], off
	v_add_nc_u32_e32 v8, 0x100, v8
	v_add_co_u32 v6, vcc_lo, 0x800, v6
	v_add_co_ci_u32_e64 v7, null, 0, v7, vcc_lo
	v_cmp_le_i32_e32 vcc_lo, s10, v8
	s_or_b32 s38, vcc_lo, s38
	s_waitcnt vmcnt(0)
	v_mul_f64 v[9:10], v[1:2], v[9:10]
	global_store_dwordx2 v[3:4], v[9:10], off
	v_add_co_u32 v3, s4, 0x800, v3
	v_add_co_ci_u32_e64 v4, null, 0, v4, s4
	s_andn2_b32 exec_lo, exec_lo, s38
	s_cbranch_execnz .LBB3_206
.LBB3_207:                              ;   in Loop: Header=BB3_6 Depth=1
	s_or_b32 exec_lo, exec_lo, s7
	s_waitcnt vmcnt(0)
	s_waitcnt_vscnt null, 0x0
	s_barrier
	s_mov_b32 s39, -1
	s_mov_b32 s7, -1
	buffer_gl0_inv
.LBB3_208:                              ;   in Loop: Header=BB3_6 Depth=1
	s_and_b32 vcc_lo, exec_lo, s5
	s_cbranch_vccz .LBB3_212
; %bb.209:                              ;   in Loop: Header=BB3_6 Depth=1
	ds_read_b32 v1, v5 offset:3100
	s_waitcnt lgkmcnt(0)
	v_readfirstlane_b32 s4, v1
	s_cmp_eq_u32 s4, 0
	s_cselect_b32 s4, -1, 0
	s_and_b32 s5, s0, s4
	s_and_saveexec_b32 s4, s5
; %bb.210:                              ;   in Loop: Header=BB3_6 Depth=1
	s_add_i32 s5, s10, 1
	v_mov_b32_e32 v1, s5
	ds_write_b32 v5, v1 offset:3100
; %bb.211:                              ;   in Loop: Header=BB3_6 Depth=1
	s_or_b32 exec_lo, exec_lo, s4
	s_mov_b32 s7, -1
	s_mov_b32 s39, -1
	s_mov_b32 s6, s10
.LBB3_212:                              ;   in Loop: Header=BB3_6 Depth=1
	s_and_saveexec_b32 s38, s0
	s_cbranch_execz .LBB3_4
; %bb.213:                              ;   in Loop: Header=BB3_6 Depth=1
	s_lshl_b64 s[4:5], s[10:11], 2
	s_xor_b32 s39, s39, -1
	s_add_u32 s4, s42, s4
	s_addc_u32 s5, s43, s5
	s_and_b32 vcc_lo, exec_lo, s39
	s_mov_b32 s39, -1
	s_cbranch_vccz .LBB3_215
; %bb.214:                              ;   in Loop: Header=BB3_6 Depth=1
	s_not_b32 s39, s6
	v_mov_b32_e32 v1, s39
	v_mov_b32_e32 v2, s39
	s_mov_b32 s39, 0
	global_store_dwordx2 v5, v[1:2], s[4:5] offset:-4
.LBB3_215:                              ;   in Loop: Header=BB3_6 Depth=1
	s_andn2_b32 vcc_lo, exec_lo, s39
	s_cbranch_vccnz .LBB3_4
; %bb.216:                              ;   in Loop: Header=BB3_6 Depth=1
	s_add_i32 s6, s6, 1
	v_mov_b32_e32 v1, s6
	global_store_dword v5, v1, s[4:5]
	s_branch .LBB3_4
.LBB3_217:                              ;   in Loop: Header=BB3_6 Depth=1
	s_mov_b32 s7, 0
	s_mov_b32 s40, -2
	s_add_i32 s39, s40, s10
	s_add_i32 s41, s39, 1
	s_cmp_eq_u32 s6, s41
	s_cbranch_scc0 .LBB3_177
	s_branch .LBB3_192
.LBB3_218:
	s_add_i32 s1, s56, 1
.LBB3_219:
	s_and_saveexec_b32 s2, s0
	s_cbranch_execz .LBB3_221
; %bb.220:
	v_mov_b32_e32 v1, 0
	s_lshl_b64 s[4:5], s[26:27], 2
	s_add_u32 s6, s16, s4
	s_addc_u32 s7, s17, s5
	ds_read_b32 v2, v1 offset:3100
	s_add_u32 s4, s14, s4
	s_addc_u32 s5, s15, s5
	s_not_b32 s0, s10
	s_add_i32 s0, s22, s0
	v_mov_b32_e32 v3, s0
	global_store_dword v1, v3, s[6:7]
	s_waitcnt lgkmcnt(0)
	global_store_dword v1, v2, s[4:5]
.LBB3_221:
	s_or_b32 exec_lo, exec_lo, s2
	s_abs_i32 s0, s23
	s_abs_i32 s4, s10
	v_cvt_f32_u32_e32 v1, s0
	s_sub_i32 s3, 0, s0
	s_mov_b32 s5, 0
	v_rcp_iflag_f32_e32 v1, v1
	v_mul_f32_e32 v1, 0x4f7ffffe, v1
	v_cvt_u32_f32_e32 v1, v1
	v_readfirstlane_b32 s2, v1
	s_mul_i32 s3, s3, s2
	s_mul_hi_u32 s3, s2, s3
	s_add_i32 s2, s2, s3
	s_ashr_i32 s3, s10, 31
	s_mul_hi_u32 s2, s4, s2
	s_mul_i32 s2, s2, s0
	s_sub_i32 s2, s4, s2
	s_sub_i32 s4, s2, s0
	s_cmp_ge_u32 s2, s0
	s_cselect_b32 s2, s4, s2
	s_sub_i32 s4, s2, s0
	s_cmp_ge_u32 s2, s0
	s_cselect_b32 s0, s4, s2
	s_add_i32 s2, s10, 1
	s_xor_b32 s0, s0, s3
	s_sub_i32 s0, s3, s0
	s_add_i32 s4, s10, s0
	s_cmp_lt_i32 s4, 0
	s_cbranch_scc1 .LBB3_240
; %bb.222:
	s_not_b32 s3, s10
	s_mul_i32 s0, s2, s21
	s_mul_i32 s6, s1, s22
	s_add_i32 s3, s22, s3
	s_ashr_i32 s1, s0, 31
	s_ashr_i32 s7, s6, 31
	s_cmp_gt_i32 s3, 0
	v_mov_b32_e32 v2, 0
	s_cselect_b32 s14, -1, 0
	s_lshl_b64 s[0:1], s[0:1], 3
	s_add_u32 s15, s20, s0
	s_addc_u32 s16, s33, s1
	s_lshl_b64 s[10:11], s[12:13], 3
	s_lshl_b64 s[6:7], s[6:7], 3
	s_add_u32 s6, s10, s6
	s_addc_u32 s7, s11, s7
	s_add_u32 s17, s24, s6
	s_addc_u32 s24, s25, s7
	s_ashr_i32 s7, s22, 31
	s_mov_b32 s6, s22
	s_lshl_b64 s[6:7], s[6:7], 3
	s_add_u32 s8, s8, s28
	s_addc_u32 s9, s9, s29
	s_add_u32 s0, s8, s0
	s_addc_u32 s1, s9, s1
	;; [unrolled: 2-line block ×3, first 2 shown]
	v_add_co_u32 v11, s0, s0, v17
	v_add_co_ci_u32_e64 v12, null, s1, 0, s0
	s_ashr_i32 s1, s21, 31
	s_mov_b32 s0, s21
	s_lshl_b64 s[8:9], s[0:1], 3
	s_branch .LBB3_224
.LBB3_223:                              ;   in Loop: Header=BB3_224 Depth=1
	s_or_b32 exec_lo, exec_lo, s1
	s_sub_i32 s4, s4, s23
	s_cmp_gt_i32 s4, -1
	s_cbranch_scc0 .LBB3_240
.LBB3_224:                              ; =>This Loop Header: Depth=1
                                        ;     Child Loop BB3_227 Depth 2
                                        ;       Child Loop BB3_230 Depth 3
                                        ;         Child Loop BB3_232 Depth 4
                                        ;     Child Loop BB3_237 Depth 2
                                        ;       Child Loop BB3_239 Depth 3
	s_lshl_b64 s[0:1], s[4:5], 3
	s_add_u32 s10, s17, s0
	s_addc_u32 s11, s24, s1
	s_sub_i32 s12, s2, s4
	s_min_i32 s18, s12, s23
	s_cmp_lt_i32 s18, 1
	s_cbranch_scc1 .LBB3_233
; %bb.225:                              ;   in Loop: Header=BB3_224 Depth=1
	v_add_co_u32 v3, vcc_lo, v11, s0
	v_add_co_ci_u32_e64 v4, null, s1, v12, vcc_lo
	s_add_i32 s19, s18, s4
	s_add_u32 s25, s20, s0
	s_addc_u32 s26, s33, s1
	s_mov_b64 s[12:13], s[10:11]
	s_mov_b32 s27, s4
	s_branch .LBB3_227
.LBB3_226:                              ;   in Loop: Header=BB3_227 Depth=2
	s_inst_prefetch 0x2
	s_or_b32 exec_lo, exec_lo, s29
	s_add_i32 s27, s27, 1
	s_add_u32 s12, s12, 8
	s_addc_u32 s13, s13, 0
	s_cmp_lt_i32 s27, s19
	s_cbranch_scc0 .LBB3_233
.LBB3_227:                              ;   Parent Loop BB3_224 Depth=1
                                        ; =>  This Loop Header: Depth=2
                                        ;       Child Loop BB3_230 Depth 3
                                        ;         Child Loop BB3_232 Depth 4
	s_sub_i32 s28, s27, s4
	s_mov_b32 s29, exec_lo
	v_cmpx_ge_i32_e64 s28, v0
	s_cbranch_execz .LBB3_226
; %bb.228:                              ;   in Loop: Header=BB3_227 Depth=2
	s_mul_i32 s0, s27, s21
	v_mov_b32_e32 v6, v4
	s_ashr_i32 s1, s0, 31
	v_mov_b32_e32 v5, v3
	s_lshl_b64 s[0:1], s[0:1], 3
	v_mov_b32_e32 v1, v0
	s_add_u32 s30, s25, s0
	s_addc_u32 s31, s26, s1
	s_mov_b32 s34, 0
	s_inst_prefetch 0x1
	s_branch .LBB3_230
	.p2align	6
.LBB3_229:                              ;   in Loop: Header=BB3_230 Depth=3
	v_lshlrev_b64 v[9:10], 3, v[1:2]
	v_add_nc_u32_e32 v1, 0x100, v1
	v_add_co_u32 v5, s0, 0x800, v5
	v_add_co_ci_u32_e64 v6, null, 0, v6, s0
	v_add_co_u32 v9, vcc_lo, s30, v9
	v_add_co_ci_u32_e64 v10, null, s31, v10, vcc_lo
	v_cmp_lt_i32_e32 vcc_lo, s28, v1
	global_load_dwordx2 v[13:14], v[9:10], off
	s_or_b32 s34, vcc_lo, s34
	s_waitcnt vmcnt(0)
	v_add_f64 v[7:8], v[13:14], -v[7:8]
	global_store_dwordx2 v[9:10], v[7:8], off
	s_andn2_b32 exec_lo, exec_lo, s34
	s_cbranch_execz .LBB3_226
.LBB3_230:                              ;   Parent Loop BB3_224 Depth=1
                                        ;     Parent Loop BB3_227 Depth=2
                                        ; =>    This Loop Header: Depth=3
                                        ;         Child Loop BB3_232 Depth 4
	v_mov_b32_e32 v7, 0
	v_mov_b32_e32 v8, 0
	s_andn2_b32 vcc_lo, exec_lo, s14
	s_cbranch_vccnz .LBB3_229
; %bb.231:                              ;   in Loop: Header=BB3_230 Depth=3
	v_mov_b32_e32 v10, v6
	v_mov_b32_e32 v9, v5
	s_mov_b64 s[0:1], s[12:13]
	s_mov_b32 s35, s3
.LBB3_232:                              ;   Parent Loop BB3_224 Depth=1
                                        ;     Parent Loop BB3_227 Depth=2
                                        ;       Parent Loop BB3_230 Depth=3
                                        ; =>      This Inner Loop Header: Depth=4
	global_load_dwordx2 v[13:14], v[9:10], off
	global_load_dwordx2 v[17:18], v2, s[0:1]
	v_add_co_u32 v9, vcc_lo, v9, s8
	s_add_i32 s35, s35, -1
	v_add_co_ci_u32_e64 v10, null, s9, v10, vcc_lo
	s_add_u32 s0, s0, s6
	s_addc_u32 s1, s1, s7
	s_cmp_eq_u32 s35, 0
	s_waitcnt vmcnt(0)
	v_fma_f64 v[7:8], v[13:14], v[17:18], v[7:8]
	s_cbranch_scc0 .LBB3_232
	s_branch .LBB3_229
.LBB3_233:                              ;   in Loop: Header=BB3_224 Depth=1
	s_mul_i32 s0, s18, s4
	s_mov_b32 s1, exec_lo
	v_cmpx_gt_i32_e64 s0, v0
	s_cbranch_execz .LBB3_223
; %bb.234:                              ;   in Loop: Header=BB3_224 Depth=1
	v_cvt_f32_u32_e32 v1, s4
	s_mul_i32 s12, s4, s21
	v_mov_b32_e32 v13, v0
	s_ashr_i32 s13, s12, 31
	s_lshl_b64 s[12:13], s[12:13], 3
	v_rcp_iflag_f32_e32 v1, v1
	s_add_u32 s12, s20, s12
	s_addc_u32 s13, s33, s13
	s_sub_i32 s18, 0, s4
	v_mul_f32_e32 v1, 0x4f7ffffe, v1
	v_cvt_u32_f32_e32 v1, v1
	v_mul_lo_u32 v3, s18, v1
	s_mov_b32 s18, 0
	v_mul_hi_u32 v3, v1, v3
	v_add_nc_u32_e32 v10, v1, v3
	s_branch .LBB3_237
.LBB3_235:                              ;   in Loop: Header=BB3_237 Depth=2
	v_mov_b32_e32 v4, 0
	v_mov_b32_e32 v5, 0
.LBB3_236:                              ;   in Loop: Header=BB3_237 Depth=2
	v_mad_u64_u32 v[6:7], null, v3, s21, v[1:2]
	v_add_nc_u32_e32 v13, 0x100, v13
	v_ashrrev_i32_e32 v7, 31, v6
	v_lshlrev_b64 v[6:7], 3, v[6:7]
	v_add_co_u32 v6, vcc_lo, s12, v6
	v_add_co_ci_u32_e64 v7, null, s13, v7, vcc_lo
	v_cmp_le_i32_e32 vcc_lo, s0, v13
	global_load_dwordx2 v[8:9], v[6:7], off
	s_or_b32 s18, vcc_lo, s18
	s_waitcnt vmcnt(0)
	v_add_f64 v[3:4], v[8:9], -v[4:5]
	global_store_dwordx2 v[6:7], v[3:4], off
	s_andn2_b32 exec_lo, exec_lo, s18
	s_cbranch_execz .LBB3_223
.LBB3_237:                              ;   Parent Loop BB3_224 Depth=1
                                        ; =>  This Loop Header: Depth=2
                                        ;       Child Loop BB3_239 Depth 3
	v_mul_hi_u32 v1, v13, v10
	v_mul_lo_u32 v3, v1, s4
	v_add_nc_u32_e32 v4, 1, v1
	v_sub_nc_u32_e32 v3, v13, v3
	v_subrev_nc_u32_e32 v5, s4, v3
	v_cmp_le_u32_e32 vcc_lo, s4, v3
	v_cndmask_b32_e32 v1, v1, v4, vcc_lo
	v_cndmask_b32_e32 v3, v3, v5, vcc_lo
	v_add_nc_u32_e32 v4, 1, v1
	v_cmp_le_u32_e32 vcc_lo, s4, v3
	v_cndmask_b32_e32 v3, v1, v4, vcc_lo
	s_andn2_b32 vcc_lo, exec_lo, s14
	v_mul_lo_u32 v1, v3, s4
	v_sub_nc_u32_e32 v1, v13, v1
	s_cbranch_vccnz .LBB3_235
; %bb.238:                              ;   in Loop: Header=BB3_237 Depth=2
	v_ashrrev_i32_e32 v4, 31, v3
	v_mov_b32_e32 v8, v1
	s_mov_b32 s19, s3
	v_lshlrev_b64 v[6:7], 3, v[3:4]
	v_mov_b32_e32 v4, 0
	v_mov_b32_e32 v5, 0
	v_add_co_u32 v6, vcc_lo, s10, v6
	v_add_co_ci_u32_e64 v7, null, s11, v7, vcc_lo
	.p2align	6
.LBB3_239:                              ;   Parent Loop BB3_224 Depth=1
                                        ;     Parent Loop BB3_237 Depth=2
                                        ; =>    This Inner Loop Header: Depth=3
	v_ashrrev_i32_e32 v9, 31, v8
	s_add_i32 s19, s19, -1
	s_cmp_eq_u32 s19, 0
	v_lshlrev_b64 v[14:15], 3, v[8:9]
	v_add_nc_u32_e32 v8, s21, v8
	v_add_co_u32 v14, vcc_lo, s15, v14
	v_add_co_ci_u32_e64 v15, null, s16, v15, vcc_lo
	global_load_dwordx2 v[17:18], v[6:7], off
	global_load_dwordx2 v[14:15], v[14:15], off
	v_add_co_u32 v6, vcc_lo, v6, s6
	v_add_co_ci_u32_e64 v7, null, s7, v7, vcc_lo
	s_waitcnt vmcnt(0)
	v_fma_f64 v[4:5], v[14:15], v[17:18], v[4:5]
	s_cbranch_scc0 .LBB3_239
	s_branch .LBB3_236
.LBB3_240:
	s_cmp_ge_i32 s2, s44
	s_waitcnt lgkmcnt(0)
	s_waitcnt_vscnt null, 0x0
	s_barrier
	buffer_gl0_inv
	s_cbranch_scc1 .LBB3_248
; %bb.241:
	v_mov_b32_e32 v1, 0
	s_lshl_b32 s0, s21, 8
	s_branch .LBB3_244
.LBB3_242:                              ;   in Loop: Header=BB3_244 Depth=1
	s_or_b32 exec_lo, exec_lo, s5
	s_waitcnt_vscnt null, 0x0
	s_barrier
	buffer_gl0_inv
.LBB3_243:                              ;   in Loop: Header=BB3_244 Depth=1
	s_cmp_lt_i32 s1, s44
	s_mov_b32 s2, s1
	s_cbranch_scc0 .LBB3_248
.LBB3_244:                              ; =>This Loop Header: Depth=1
                                        ;     Child Loop BB3_247 Depth 2
	s_ashr_i32 s3, s2, 31
	s_lshl_b64 s[4:5], s[2:3], 2
	s_add_u32 s4, s42, s4
	s_addc_u32 s5, s43, s5
	global_load_dword v2, v1, s[4:5]
	s_waitcnt vmcnt(0)
	v_readfirstlane_b32 s1, v2
	s_not_b32 s3, s1
	s_add_i32 s4, s1, -1
	s_cmp_lt_i32 s1, 0
	s_cselect_b32 s3, s3, s4
	s_lshr_b32 s6, s1, 31
	s_add_i32 s1, s2, s6
	s_add_i32 s1, s1, 1
	s_cmp_eq_u32 s3, s2
	s_cselect_b32 s4, -1, 0
	s_cmp_le_i32 s22, s1
	s_cselect_b32 s5, -1, 0
	s_or_b32 s4, s4, s5
	s_and_b32 vcc_lo, exec_lo, s4
	s_cbranch_vccnz .LBB3_243
; %bb.245:                              ;   in Loop: Header=BB3_244 Depth=1
	s_sub_i32 s4, s22, s1
	s_mov_b32 s5, exec_lo
	v_cmpx_gt_i32_e64 s4, v0
	s_cbranch_execz .LBB3_242
; %bb.246:                              ;   in Loop: Header=BB3_244 Depth=1
	v_add3_u32 v2, s6, s2, v16
	v_mov_b32_e32 v3, v0
	s_mov_b32 s6, 0
	v_mul_lo_u32 v2, s21, v2
	.p2align	6
.LBB3_247:                              ;   Parent Loop BB3_244 Depth=1
                                        ; =>  This Inner Loop Header: Depth=2
	v_add_nc_u32_e32 v4, s2, v2
	v_add_nc_u32_e32 v6, s3, v2
	v_add_nc_u32_e32 v3, 0x100, v3
	v_add_nc_u32_e32 v2, s0, v2
	v_ashrrev_i32_e32 v5, 31, v4
	v_ashrrev_i32_e32 v7, 31, v6
	v_lshlrev_b64 v[4:5], 3, v[4:5]
	v_lshlrev_b64 v[6:7], 3, v[6:7]
	v_add_co_u32 v4, vcc_lo, s20, v4
	v_add_co_ci_u32_e64 v5, null, s33, v5, vcc_lo
	v_add_co_u32 v6, vcc_lo, s20, v6
	v_add_co_ci_u32_e64 v7, null, s33, v7, vcc_lo
	s_clause 0x1
	global_load_dwordx2 v[8:9], v[4:5], off
	global_load_dwordx2 v[10:11], v[6:7], off
	v_cmp_le_i32_e32 vcc_lo, s4, v3
	s_waitcnt vmcnt(1)
	global_store_dwordx2 v[6:7], v[8:9], off
	s_waitcnt vmcnt(0)
	global_store_dwordx2 v[4:5], v[10:11], off
	s_or_b32 s6, vcc_lo, s6
	s_andn2_b32 exec_lo, exec_lo, s6
	s_cbranch_execnz .LBB3_247
	s_branch .LBB3_242
.LBB3_248:
	s_endpgm
	.section	.rodata,"a",@progbits
	.p2align	6, 0x0
	.amdhsa_kernel _ZN9rocsolver6v33100L18lasyf_kernel_upperIdPdEEviiPiT0_iilS3_lS3_PT_
		.amdhsa_group_segment_fixed_size 3104
		.amdhsa_private_segment_fixed_size 0
		.amdhsa_kernarg_size 72
		.amdhsa_user_sgpr_count 6
		.amdhsa_user_sgpr_private_segment_buffer 1
		.amdhsa_user_sgpr_dispatch_ptr 0
		.amdhsa_user_sgpr_queue_ptr 0
		.amdhsa_user_sgpr_kernarg_segment_ptr 1
		.amdhsa_user_sgpr_dispatch_id 0
		.amdhsa_user_sgpr_flat_scratch_init 0
		.amdhsa_user_sgpr_private_segment_size 0
		.amdhsa_wavefront_size32 1
		.amdhsa_uses_dynamic_stack 0
		.amdhsa_system_sgpr_private_segment_wavefront_offset 0
		.amdhsa_system_sgpr_workgroup_id_x 1
		.amdhsa_system_sgpr_workgroup_id_y 1
		.amdhsa_system_sgpr_workgroup_id_z 0
		.amdhsa_system_sgpr_workgroup_info 0
		.amdhsa_system_vgpr_workitem_id 0
		.amdhsa_next_free_vgpr 34
		.amdhsa_next_free_sgpr 64
		.amdhsa_reserve_vcc 1
		.amdhsa_reserve_flat_scratch 0
		.amdhsa_float_round_mode_32 0
		.amdhsa_float_round_mode_16_64 0
		.amdhsa_float_denorm_mode_32 3
		.amdhsa_float_denorm_mode_16_64 3
		.amdhsa_dx10_clamp 1
		.amdhsa_ieee_mode 1
		.amdhsa_fp16_overflow 0
		.amdhsa_workgroup_processor_mode 1
		.amdhsa_memory_ordered 1
		.amdhsa_forward_progress 1
		.amdhsa_shared_vgpr_count 0
		.amdhsa_exception_fp_ieee_invalid_op 0
		.amdhsa_exception_fp_denorm_src 0
		.amdhsa_exception_fp_ieee_div_zero 0
		.amdhsa_exception_fp_ieee_overflow 0
		.amdhsa_exception_fp_ieee_underflow 0
		.amdhsa_exception_fp_ieee_inexact 0
		.amdhsa_exception_int_div_zero 0
	.end_amdhsa_kernel
	.section	.text._ZN9rocsolver6v33100L18lasyf_kernel_upperIdPdEEviiPiT0_iilS3_lS3_PT_,"axG",@progbits,_ZN9rocsolver6v33100L18lasyf_kernel_upperIdPdEEviiPiT0_iilS3_lS3_PT_,comdat
.Lfunc_end3:
	.size	_ZN9rocsolver6v33100L18lasyf_kernel_upperIdPdEEviiPiT0_iilS3_lS3_PT_, .Lfunc_end3-_ZN9rocsolver6v33100L18lasyf_kernel_upperIdPdEEviiPiT0_iilS3_lS3_PT_
                                        ; -- End function
	.set _ZN9rocsolver6v33100L18lasyf_kernel_upperIdPdEEviiPiT0_iilS3_lS3_PT_.num_vgpr, 34
	.set _ZN9rocsolver6v33100L18lasyf_kernel_upperIdPdEEviiPiT0_iilS3_lS3_PT_.num_agpr, 0
	.set _ZN9rocsolver6v33100L18lasyf_kernel_upperIdPdEEviiPiT0_iilS3_lS3_PT_.numbered_sgpr, 64
	.set _ZN9rocsolver6v33100L18lasyf_kernel_upperIdPdEEviiPiT0_iilS3_lS3_PT_.num_named_barrier, 0
	.set _ZN9rocsolver6v33100L18lasyf_kernel_upperIdPdEEviiPiT0_iilS3_lS3_PT_.private_seg_size, 0
	.set _ZN9rocsolver6v33100L18lasyf_kernel_upperIdPdEEviiPiT0_iilS3_lS3_PT_.uses_vcc, 1
	.set _ZN9rocsolver6v33100L18lasyf_kernel_upperIdPdEEviiPiT0_iilS3_lS3_PT_.uses_flat_scratch, 0
	.set _ZN9rocsolver6v33100L18lasyf_kernel_upperIdPdEEviiPiT0_iilS3_lS3_PT_.has_dyn_sized_stack, 0
	.set _ZN9rocsolver6v33100L18lasyf_kernel_upperIdPdEEviiPiT0_iilS3_lS3_PT_.has_recursion, 0
	.set _ZN9rocsolver6v33100L18lasyf_kernel_upperIdPdEEviiPiT0_iilS3_lS3_PT_.has_indirect_call, 0
	.section	.AMDGPU.csdata,"",@progbits
; Kernel info:
; codeLenInByte = 10896
; TotalNumSgprs: 66
; NumVgprs: 34
; ScratchSize: 0
; MemoryBound: 0
; FloatMode: 240
; IeeeMode: 1
; LDSByteSize: 3104 bytes/workgroup (compile time only)
; SGPRBlocks: 0
; VGPRBlocks: 4
; NumSGPRsForWavesPerEU: 66
; NumVGPRsForWavesPerEU: 34
; Occupancy: 16
; WaveLimiterHint : 1
; COMPUTE_PGM_RSRC2:SCRATCH_EN: 0
; COMPUTE_PGM_RSRC2:USER_SGPR: 6
; COMPUTE_PGM_RSRC2:TRAP_HANDLER: 0
; COMPUTE_PGM_RSRC2:TGID_X_EN: 1
; COMPUTE_PGM_RSRC2:TGID_Y_EN: 1
; COMPUTE_PGM_RSRC2:TGID_Z_EN: 0
; COMPUTE_PGM_RSRC2:TIDIG_COMP_CNT: 0
	.section	.text._ZN9rocsolver6v33100L18lasyf_kernel_lowerIdPdEEviiPiT0_iilS3_lS3_PT_,"axG",@progbits,_ZN9rocsolver6v33100L18lasyf_kernel_lowerIdPdEEviiPiT0_iilS3_lS3_PT_,comdat
	.globl	_ZN9rocsolver6v33100L18lasyf_kernel_lowerIdPdEEviiPiT0_iilS3_lS3_PT_ ; -- Begin function _ZN9rocsolver6v33100L18lasyf_kernel_lowerIdPdEEviiPiT0_iilS3_lS3_PT_
	.p2align	8
	.type	_ZN9rocsolver6v33100L18lasyf_kernel_lowerIdPdEEviiPiT0_iilS3_lS3_PT_,@function
_ZN9rocsolver6v33100L18lasyf_kernel_lowerIdPdEEviiPiT0_iilS3_lS3_PT_: ; @_ZN9rocsolver6v33100L18lasyf_kernel_lowerIdPdEEviiPiT0_iilS3_lS3_PT_
; %bb.0:
	v_cmp_eq_u32_e64 s0, 0, v0
	s_mov_b32 s24, s7
	s_and_saveexec_b32 s1, s0
; %bb.1:
	v_mov_b32_e32 v1, 0
	ds_write_b32 v1, v1 offset:3100
; %bb.2:
	s_or_b32 exec_lo, exec_lo, s1
	s_clause 0x4
	s_load_dwordx2 s[20:21], s[4:5], 0x18
	s_load_dwordx8 s[8:15], s[4:5], 0x20
	s_load_dwordx2 s[22:23], s[4:5], 0x0
	s_load_dwordx4 s[16:19], s[4:5], 0x8
	s_load_dwordx2 s[26:27], s[4:5], 0x40
	s_ashr_i32 s25, s24, 31
	v_lshlrev_b32_e32 v27, 3, v0
	s_waitcnt lgkmcnt(0)
	s_ashr_i32 s3, s20, 31
	s_mul_hi_u32 s1, s8, s24
	s_mul_i32 s4, s8, s25
	s_mul_i32 s5, s9, s24
	s_add_i32 s1, s1, s4
	s_mul_i32 s4, s8, s24
	s_add_i32 s5, s1, s5
	s_mov_b32 s2, s20
	s_lshl_b64 s[28:29], s[4:5], 3
	s_mul_i32 s1, s22, s24
	s_add_u32 s5, s18, s28
	s_addc_u32 s6, s19, s29
	s_lshl_b64 s[30:31], s[2:3], 3
	s_mul_i32 s2, s1, s23
	s_add_u32 s20, s5, s30
	s_addc_u32 s33, s6, s31
	s_ashr_i32 s3, s2, 31
	s_mul_hi_u32 s4, s12, s24
	s_lshl_b64 s[34:35], s[2:3], 3
	s_mul_i32 s1, s12, s25
	s_add_u32 s8, s26, s34
	s_mul_i32 s3, s13, s24
	s_addc_u32 s9, s27, s35
	s_add_i32 s1, s4, s1
	s_mul_i32 s2, s12, s24
	s_add_i32 s3, s1, s3
	v_mul_lo_u32 v26, v0, s21
	s_lshl_b64 s[2:3], s[2:3], 2
	s_add_u32 s42, s10, s2
	s_addc_u32 s43, s11, s3
	s_cmp_lt_i32 s22, 1
	s_cbranch_scc1 .LBB4_248
; %bb.3:
	s_add_i32 s44, s23, -1
	s_cmp_eq_u32 s23, s22
	v_mul_lo_u32 v33, v0, s22
	s_cselect_b32 s45, -1, 0
	s_add_i32 s46, s22, -1
	s_add_i32 s47, s21, 1
	s_add_i32 s48, s22, -2
	s_add_i32 s49, s22, 1
	s_add_u32 s50, s26, s34
	s_addc_u32 s51, s27, s35
	s_add_u32 s4, s28, s30
	s_addc_u32 s5, s29, s31
	;; [unrolled: 2-line block ×3, first 2 shown]
	s_ashr_i32 s5, s21, 31
	s_mov_b32 s4, s21
	v_add_nc_u32_e32 v7, 2, v0
	s_lshl_b64 s[36:37], s[4:5], 3
	v_add_co_u32 v31, s4, s50, v27
	v_mov_b32_e32 v9, 0
	v_add_co_ci_u32_e64 v32, null, s51, 0, s4
	v_mul_lo_u32 v36, v0, s21
	v_add_co_u32 v29, s6, s52, v27
	v_add_co_u32 v34, vcc_lo, v31, 8
	s_lshl_b32 s4, s22, 8
	v_lshl_or_b32 v28, v0, 2, 0x800
	v_cmp_gt_u32_e64 s1, 0x80, v0
	v_cmp_gt_u32_e64 s2, 64, v0
	;; [unrolled: 1-line block ×3, first 2 shown]
	v_add_co_ci_u32_e64 v30, null, s53, 0, s6
	v_add_co_ci_u32_e64 v35, null, 0, v32, vcc_lo
	v_ashrrev_i32_e32 v37, 31, v33
	v_add_nc_u32_e32 v38, s21, v7
	v_mov_b32_e32 v5, v9
	s_mov_b32 s11, 0
	s_mov_b32 s10, s22
	s_ashr_i32 s5, s4, 31
	s_mov_b32 s40, 0x66afed07
	s_lshl_b64 s[12:13], s[10:11], 3
	s_lshl_b32 s10, s21, 8
	s_lshl_b64 s[38:39], s[4:5], 3
	s_mov_b32 s41, 0x3fe47e0f
                                        ; implicit-def: $sgpr54
	s_branch .LBB4_6
.LBB4_4:                                ;   in Loop: Header=BB4_6 Depth=1
	s_or_b32 exec_lo, exec_lo, s4
	v_add_nc_u32_e32 v5, v1, v5
	s_andn2_b32 s4, s54, exec_lo
	v_cmp_le_i32_e32 vcc_lo, s22, v5
	s_and_b32 s5, vcc_lo, exec_lo
	s_or_b32 s54, s4, s5
.LBB4_5:                                ;   in Loop: Header=BB4_6 Depth=1
	s_or_b32 exec_lo, exec_lo, s55
	s_and_b32 s4, exec_lo, s54
	s_or_b32 s11, s4, s11
	s_andn2_b32 exec_lo, exec_lo, s11
	s_cbranch_execz .LBB4_216
.LBB4_6:                                ; =>This Loop Header: Depth=1
                                        ;     Child Loop BB4_11 Depth 2
                                        ;     Child Loop BB4_16 Depth 2
                                        ;       Child Loop BB4_18 Depth 3
                                        ;     Child Loop BB4_22 Depth 2
                                        ;     Child Loop BB4_66 Depth 2
                                        ;     Child Loop BB4_71 Depth 2
                                        ;     Child Loop BB4_76 Depth 2
                                        ;       Child Loop BB4_78 Depth 3
                                        ;     Child Loop BB4_83 Depth 2
                                        ;     Child Loop BB4_126 Depth 2
                                        ;     Child Loop BB4_172 Depth 2
                                        ;     Child Loop BB4_181 Depth 2
                                        ;     Child Loop BB4_184 Depth 2
                                        ;     Child Loop BB4_187 Depth 2
                                        ;     Child Loop BB4_190 Depth 2
                                        ;     Child Loop BB4_196 Depth 2
                                        ;     Child Loop BB4_205 Depth 2
	v_cmp_gt_i32_e32 vcc_lo, s44, v5
	s_or_b32 s54, s54, exec_lo
	s_or_b32 s4, s45, vcc_lo
	s_and_saveexec_b32 s55, s4
	s_cbranch_execz .LBB4_5
; %bb.7:                                ;   in Loop: Header=BB4_6 Depth=1
	v_sub_nc_u32_e32 v41, s22, v5
	v_mul_lo_u32 v14, v5, s22
	s_mov_b32 s4, exec_lo
	v_cmp_lt_i32_e64 s5, v0, v41
	v_cmpx_ge_i32_e64 v0, v41
	s_xor_b32 s4, exec_lo, s4
; %bb.8:                                ;   in Loop: Header=BB4_6 Depth=1
	v_mul_lo_u32 v14, v5, s22
; %bb.9:                                ;   in Loop: Header=BB4_6 Depth=1
	s_andn2_saveexec_b32 s6, s4
	s_cbranch_execz .LBB4_13
; %bb.10:                               ;   in Loop: Header=BB4_6 Depth=1
	v_mad_u64_u32 v[1:2], null, s47, v5, v[0:1]
	v_mov_b32_e32 v6, v0
	s_mov_b32 s7, 0
	v_mad_u64_u32 v[3:4], null, s49, v5, v[0:1]
	v_mov_b32_e32 v4, v9
	v_ashrrev_i32_e32 v2, 31, v1
	v_lshlrev_b64 v[10:11], 3, v[1:2]
	v_lshlrev_b64 v[3:4], 3, v[3:4]
	v_add_co_u32 v1, vcc_lo, s50, v3
	v_add_co_ci_u32_e64 v2, null, s51, v4, vcc_lo
	v_add_co_u32 v3, vcc_lo, s52, v10
	v_add_co_ci_u32_e64 v4, null, s53, v11, vcc_lo
	.p2align	6
.LBB4_11:                               ;   Parent Loop BB4_6 Depth=1
                                        ; =>  This Inner Loop Header: Depth=2
	global_load_dwordx2 v[10:11], v[3:4], off
	v_add_nc_u32_e32 v6, 0x100, v6
	v_add_co_u32 v3, vcc_lo, 0x800, v3
	v_add_co_ci_u32_e64 v4, null, 0, v4, vcc_lo
	v_cmp_ge_i32_e32 vcc_lo, v6, v41
	s_or_b32 s7, vcc_lo, s7
	s_waitcnt vmcnt(0)
	global_store_dwordx2 v[1:2], v[10:11], off
	v_add_co_u32 v1, s4, 0x800, v1
	v_add_co_ci_u32_e64 v2, null, 0, v2, s4
	s_andn2_b32 exec_lo, exec_lo, s7
	s_cbranch_execnz .LBB4_11
; %bb.12:                               ;   in Loop: Header=BB4_6 Depth=1
	s_or_b32 exec_lo, exec_lo, s7
.LBB4_13:                               ;   in Loop: Header=BB4_6 Depth=1
	s_or_b32 exec_lo, exec_lo, s6
	v_mov_b32_e32 v6, v9
	v_ashrrev_i32_e32 v15, 31, v14
	s_waitcnt_vscnt null, 0x0
	s_barrier
	buffer_gl0_inv
	v_lshlrev_b64 v[12:13], 3, v[5:6]
	v_lshlrev_b64 v[3:4], 3, v[14:15]
	v_add_co_u32 v16, vcc_lo, s8, v12
	v_add_co_ci_u32_e64 v17, null, s9, v13, vcc_lo
	v_add_co_u32 v10, vcc_lo, v16, v3
	v_add_co_ci_u32_e64 v11, null, v17, v4, vcc_lo
	s_and_saveexec_b32 s7, s5
	s_cbranch_execz .LBB4_20
; %bb.14:                               ;   in Loop: Header=BB4_6 Depth=1
	v_add_co_u32 v1, s4, v29, v12
	v_add_co_ci_u32_e64 v2, null, v30, v13, s4
	v_mov_b32_e32 v8, v0
	s_mov_b32 s56, 0
	v_cmp_ne_u32_e32 vcc_lo, 0, v5
	s_branch .LBB4_16
.LBB4_15:                               ;   in Loop: Header=BB4_16 Depth=2
	s_or_b32 exec_lo, exec_lo, s57
	v_lshlrev_b64 v[20:21], 3, v[8:9]
	v_add_nc_u32_e32 v8, 0x100, v8
	v_add_co_u32 v1, s6, 0x800, v1
	v_add_co_ci_u32_e64 v2, null, 0, v2, s6
	v_add_co_u32 v20, s4, v10, v20
	v_add_co_ci_u32_e64 v21, null, v11, v21, s4
	v_cmp_ge_i32_e64 s4, v8, v41
	global_load_dwordx2 v[22:23], v[20:21], off
	s_or_b32 s56, s4, s56
	s_waitcnt vmcnt(0)
	v_add_f64 v[18:19], v[22:23], -v[18:19]
	global_store_dwordx2 v[20:21], v[18:19], off
	s_andn2_b32 exec_lo, exec_lo, s56
	s_cbranch_execz .LBB4_20
.LBB4_16:                               ;   Parent Loop BB4_6 Depth=1
                                        ; =>  This Loop Header: Depth=2
                                        ;       Child Loop BB4_18 Depth 3
	v_mov_b32_e32 v18, 0
	v_mov_b32_e32 v19, 0
	s_and_saveexec_b32 s57, vcc_lo
	s_cbranch_execz .LBB4_15
; %bb.17:                               ;   in Loop: Header=BB4_16 Depth=2
	v_mov_b32_e32 v18, 0
	v_mov_b32_e32 v21, v2
	;; [unrolled: 1-line block ×7, first 2 shown]
	s_mov_b32 s58, 0
	.p2align	6
.LBB4_18:                               ;   Parent Loop BB4_6 Depth=1
                                        ;     Parent Loop BB4_16 Depth=2
                                        ; =>    This Inner Loop Header: Depth=3
	global_load_dwordx2 v[39:40], v[20:21], off
	global_load_dwordx2 v[42:43], v[22:23], off
	v_add_nc_u32_e32 v24, -1, v24
	v_add_co_u32 v22, s4, v22, s12
	v_add_co_ci_u32_e64 v23, null, s13, v23, s4
	v_cmp_eq_u32_e64 s4, 0, v24
	v_add_co_u32 v20, s6, v20, s36
	v_add_co_ci_u32_e64 v21, null, s37, v21, s6
	s_or_b32 s58, s4, s58
	s_waitcnt vmcnt(0)
	v_fma_f64 v[18:19], v[39:40], v[42:43], v[18:19]
	s_andn2_b32 exec_lo, exec_lo, s58
	s_cbranch_execnz .LBB4_18
; %bb.19:                               ;   in Loop: Header=BB4_16 Depth=2
	s_or_b32 exec_lo, exec_lo, s58
	s_branch .LBB4_15
.LBB4_20:                               ;   in Loop: Header=BB4_6 Depth=1
	s_or_b32 exec_lo, exec_lo, s7
	v_add_nc_u32_e32 v39, -1, v41
	v_mov_b32_e32 v1, 0
	v_mov_b32_e32 v2, 0
	v_bfrev_b32_e32 v8, -2
	s_waitcnt_vscnt null, 0x0
	v_cmp_lt_i32_e64 s4, v0, v39
	s_barrier
	buffer_gl0_inv
	s_and_saveexec_b32 s7, s4
	s_cbranch_execz .LBB4_24
; %bb.21:                               ;   in Loop: Header=BB4_6 Depth=1
	v_add_co_u32 v1, vcc_lo, v3, v12
	v_add_co_ci_u32_e64 v2, null, v4, v13, vcc_lo
	v_bfrev_b32_e32 v8, -2
	v_add_co_u32 v3, vcc_lo, v34, v1
	v_add_co_ci_u32_e64 v4, null, v35, v2, vcc_lo
	v_mov_b32_e32 v1, 0
	v_mov_b32_e32 v2, 0
	v_mov_b32_e32 v18, v0
	s_mov_b32 s56, 0
	.p2align	6
.LBB4_22:                               ;   Parent Loop BB4_6 Depth=1
                                        ; =>  This Inner Loop Header: Depth=2
	global_load_dwordx2 v[19:20], v[3:4], off
	v_cmp_eq_u32_e32 vcc_lo, 0x7fffffff, v8
	v_add_nc_u32_e32 v21, 1, v18
	v_add_nc_u32_e32 v18, 0x100, v18
	v_add_co_u32 v3, s6, 0x800, v3
	v_add_co_ci_u32_e64 v4, null, 0, v4, s6
	v_cmp_ge_i32_e64 s6, v18, v39
	s_waitcnt vmcnt(0)
	v_cmp_lt_f64_e64 s57, v[1:2], |v[19:20]|
	v_and_b32_e32 v20, 0x7fffffff, v20
	s_or_b32 vcc_lo, s57, vcc_lo
	s_or_b32 s56, s6, s56
	v_cndmask_b32_e32 v2, v2, v20, vcc_lo
	v_cndmask_b32_e32 v1, v1, v19, vcc_lo
	;; [unrolled: 1-line block ×3, first 2 shown]
	s_andn2_b32 exec_lo, exec_lo, s56
	s_cbranch_execnz .LBB4_22
; %bb.23:                               ;   in Loop: Header=BB4_6 Depth=1
	s_or_b32 exec_lo, exec_lo, s56
.LBB4_24:                               ;   in Loop: Header=BB4_6 Depth=1
	s_or_b32 exec_lo, exec_lo, s7
	s_mov_b32 s56, exec_lo
	ds_write_b64 v27, v[1:2]
	ds_write_b32 v28, v8
	s_waitcnt lgkmcnt(0)
	s_barrier
	buffer_gl0_inv
	v_cmpx_lt_i32_e32 2, v41
	s_cbranch_execz .LBB4_60
; %bb.25:                               ;   in Loop: Header=BB4_6 Depth=1
	s_and_saveexec_b32 s7, s1
	s_cbranch_execz .LBB4_31
; %bb.26:                               ;   in Loop: Header=BB4_6 Depth=1
	ds_read_b64 v[3:4], v27 offset:1024
	ds_read_b32 v18, v28 offset:512
	s_mov_b32 s58, exec_lo
	s_waitcnt lgkmcnt(1)
	v_cmp_lt_f64_e64 s57, v[1:2], v[3:4]
	v_cmpx_nlt_f64_e32 v[1:2], v[3:4]
	s_cbranch_execz .LBB4_28
; %bb.27:                               ;   in Loop: Header=BB4_6 Depth=1
	v_cmp_eq_f64_e32 vcc_lo, v[1:2], v[3:4]
	s_waitcnt lgkmcnt(0)
	v_cmp_gt_i32_e64 s6, v8, v18
	s_andn2_b32 s57, s57, exec_lo
	s_and_b32 s6, vcc_lo, s6
	s_and_b32 s6, s6, exec_lo
	s_or_b32 s57, s57, s6
.LBB4_28:                               ;   in Loop: Header=BB4_6 Depth=1
	s_or_b32 exec_lo, exec_lo, s58
	s_and_saveexec_b32 s6, s57
	s_cbranch_execz .LBB4_30
; %bb.29:                               ;   in Loop: Header=BB4_6 Depth=1
	v_mov_b32_e32 v1, v3
	s_waitcnt lgkmcnt(0)
	v_mov_b32_e32 v8, v18
	v_mov_b32_e32 v2, v4
	ds_write_b64 v27, v[3:4]
	ds_write_b32 v28, v18
.LBB4_30:                               ;   in Loop: Header=BB4_6 Depth=1
	s_or_b32 exec_lo, exec_lo, s6
.LBB4_31:                               ;   in Loop: Header=BB4_6 Depth=1
	s_or_b32 exec_lo, exec_lo, s7
	s_waitcnt lgkmcnt(0)
	s_barrier
	buffer_gl0_inv
	s_and_saveexec_b32 s7, s2
	s_cbranch_execz .LBB4_37
; %bb.32:                               ;   in Loop: Header=BB4_6 Depth=1
	ds_read_b64 v[3:4], v27 offset:512
	ds_read_b32 v18, v28 offset:256
	s_mov_b32 s58, exec_lo
	s_waitcnt lgkmcnt(1)
	v_cmp_lt_f64_e64 s57, v[1:2], v[3:4]
	v_cmpx_nlt_f64_e32 v[1:2], v[3:4]
	s_cbranch_execz .LBB4_34
; %bb.33:                               ;   in Loop: Header=BB4_6 Depth=1
	v_cmp_eq_f64_e32 vcc_lo, v[1:2], v[3:4]
	s_waitcnt lgkmcnt(0)
	v_cmp_gt_i32_e64 s6, v8, v18
	s_andn2_b32 s57, s57, exec_lo
	s_and_b32 s6, vcc_lo, s6
	s_and_b32 s6, s6, exec_lo
	s_or_b32 s57, s57, s6
.LBB4_34:                               ;   in Loop: Header=BB4_6 Depth=1
	s_or_b32 exec_lo, exec_lo, s58
	s_and_saveexec_b32 s6, s57
	s_cbranch_execz .LBB4_36
; %bb.35:                               ;   in Loop: Header=BB4_6 Depth=1
	v_mov_b32_e32 v1, v3
	s_waitcnt lgkmcnt(0)
	v_mov_b32_e32 v8, v18
	v_mov_b32_e32 v2, v4
	ds_write_b64 v27, v[3:4]
	ds_write_b32 v28, v18
.LBB4_36:                               ;   in Loop: Header=BB4_6 Depth=1
	s_or_b32 exec_lo, exec_lo, s6
.LBB4_37:                               ;   in Loop: Header=BB4_6 Depth=1
	s_or_b32 exec_lo, exec_lo, s7
	s_waitcnt lgkmcnt(0)
	s_barrier
	buffer_gl0_inv
	s_and_b32 exec_lo, exec_lo, s3
	s_cbranch_execz .LBB4_60
; %bb.38:                               ;   in Loop: Header=BB4_6 Depth=1
	ds_read_b64 v[3:4], v27 offset:256
	ds_read_b32 v18, v28 offset:128
	s_mov_b32 s57, exec_lo
	s_waitcnt lgkmcnt(1)
	v_cmp_lt_f64_e64 s7, v[1:2], v[3:4]
	v_cmpx_nlt_f64_e32 v[1:2], v[3:4]
	s_cbranch_execz .LBB4_40
; %bb.39:                               ;   in Loop: Header=BB4_6 Depth=1
	v_cmp_eq_f64_e32 vcc_lo, v[1:2], v[3:4]
	s_waitcnt lgkmcnt(0)
	v_cmp_gt_i32_e64 s6, v8, v18
	s_andn2_b32 s7, s7, exec_lo
	s_and_b32 s6, vcc_lo, s6
	s_and_b32 s6, s6, exec_lo
	s_or_b32 s7, s7, s6
.LBB4_40:                               ;   in Loop: Header=BB4_6 Depth=1
	s_or_b32 exec_lo, exec_lo, s57
	s_and_saveexec_b32 s6, s7
	s_cbranch_execz .LBB4_42
; %bb.41:                               ;   in Loop: Header=BB4_6 Depth=1
	v_mov_b32_e32 v1, v3
	v_mov_b32_e32 v2, v4
	s_waitcnt lgkmcnt(0)
	v_mov_b32_e32 v8, v18
	ds_write_b64 v27, v[3:4]
	ds_write_b32 v28, v18
.LBB4_42:                               ;   in Loop: Header=BB4_6 Depth=1
	s_or_b32 exec_lo, exec_lo, s6
	ds_read_b64 v[3:4], v27 offset:128
	s_waitcnt lgkmcnt(1)
	ds_read_b32 v18, v28 offset:64
	s_mov_b32 s57, exec_lo
	s_waitcnt lgkmcnt(1)
	v_cmp_lt_f64_e64 s7, v[1:2], v[3:4]
	v_cmpx_nlt_f64_e32 v[1:2], v[3:4]
	s_cbranch_execz .LBB4_44
; %bb.43:                               ;   in Loop: Header=BB4_6 Depth=1
	v_cmp_eq_f64_e32 vcc_lo, v[1:2], v[3:4]
	s_waitcnt lgkmcnt(0)
	v_cmp_gt_i32_e64 s6, v8, v18
	s_andn2_b32 s7, s7, exec_lo
	s_and_b32 s6, vcc_lo, s6
	s_and_b32 s6, s6, exec_lo
	s_or_b32 s7, s7, s6
.LBB4_44:                               ;   in Loop: Header=BB4_6 Depth=1
	s_or_b32 exec_lo, exec_lo, s57
	s_and_saveexec_b32 s6, s7
	s_cbranch_execz .LBB4_46
; %bb.45:                               ;   in Loop: Header=BB4_6 Depth=1
	v_mov_b32_e32 v1, v3
	v_mov_b32_e32 v2, v4
	s_waitcnt lgkmcnt(0)
	v_mov_b32_e32 v8, v18
	ds_write_b64 v27, v[3:4]
	ds_write_b32 v28, v18
.LBB4_46:                               ;   in Loop: Header=BB4_6 Depth=1
	s_or_b32 exec_lo, exec_lo, s6
	ds_read_b64 v[3:4], v27 offset:64
	s_waitcnt lgkmcnt(1)
	;; [unrolled: 29-line block ×5, first 2 shown]
	ds_read_b32 v18, v28 offset:4
	s_waitcnt lgkmcnt(1)
	v_cmp_eq_f64_e32 vcc_lo, v[1:2], v[3:4]
	v_cmp_lt_f64_e64 s6, v[1:2], v[3:4]
	s_waitcnt lgkmcnt(0)
	v_cmp_gt_i32_e64 s7, v8, v18
	s_and_b32 s7, vcc_lo, s7
	s_or_b32 s6, s6, s7
	s_and_b32 exec_lo, exec_lo, s6
	s_cbranch_execz .LBB4_60
; %bb.59:                               ;   in Loop: Header=BB4_6 Depth=1
	ds_write_b64 v27, v[3:4]
	ds_write_b32 v28, v18
.LBB4_60:                               ;   in Loop: Header=BB4_6 Depth=1
	s_or_b32 exec_lo, exec_lo, s56
	s_and_saveexec_b32 s6, s0
	s_cbranch_execz .LBB4_62
; %bb.61:                               ;   in Loop: Header=BB4_6 Depth=1
	global_load_dwordx2 v[1:2], v[10:11], off
	ds_read_b32 v8, v9 offset:2048
	ds_read_b64 v[3:4], v9
	s_waitcnt lgkmcnt(1)
	v_add_nc_u32_e32 v8, v8, v5
	s_waitcnt vmcnt(0)
	v_and_b32_e32 v2, 0x7fffffff, v2
	ds_write_b32 v9, v8 offset:3096
	s_waitcnt lgkmcnt(1)
	ds_write_b128 v9, v[1:4] offset:3072
.LBB4_62:                               ;   in Loop: Header=BB4_6 Depth=1
	s_or_b32 exec_lo, exec_lo, s6
	s_waitcnt lgkmcnt(0)
	s_barrier
	buffer_gl0_inv
	ds_read_b128 v[1:4], v9 offset:3072
	v_add_nc_u32_e32 v40, 1, v5
	s_waitcnt lgkmcnt(0)
	v_cmp_lt_f64_e32 vcc_lo, v[1:2], v[3:4]
	v_cndmask_b32_e32 v19, v2, v4, vcc_lo
	v_cndmask_b32_e32 v18, v1, v3, vcc_lo
	v_cmp_neq_f64_e32 vcc_lo, 0, v[18:19]
	s_cbranch_vccz .LBB4_80
; %bb.63:                               ;   in Loop: Header=BB4_6 Depth=1
	v_mul_f64 v[3:4], v[3:4], s[40:41]
	v_cmp_ge_f64_e32 vcc_lo, v[1:2], v[3:4]
	s_cbranch_vccnz .LBB4_175
; %bb.64:                               ;   in Loop: Header=BB4_6 Depth=1
	ds_read_b32 v2, v9 offset:3096
	s_mov_b32 s7, exec_lo
	s_waitcnt lgkmcnt(0)
	v_sub_nc_u32_e32 v1, v2, v5
	v_cmpx_lt_i32_e64 v0, v1
	s_cbranch_execz .LBB4_67
; %bb.65:                               ;   in Loop: Header=BB4_6 Depth=1
	v_add_nc_u32_e32 v3, v0, v5
	v_mov_b32_e32 v8, v0
	s_mov_b32 s56, 0
	v_mad_u64_u32 v[18:19], null, v40, s22, v[3:4]
	v_mov_b32_e32 v19, v9
	v_mad_u64_u32 v[3:4], null, s21, v3, v[2:3]
	v_lshlrev_b64 v[18:19], 3, v[18:19]
	v_add_co_u32 v18, vcc_lo, s50, v18
	v_add_co_ci_u32_e64 v19, null, s51, v19, vcc_lo
	.p2align	6
.LBB4_66:                               ;   Parent Loop BB4_6 Depth=1
                                        ; =>  This Inner Loop Header: Depth=2
	v_ashrrev_i32_e32 v4, 31, v3
	v_add_nc_u32_e32 v8, 0x100, v8
	v_lshlrev_b64 v[20:21], 3, v[3:4]
	v_add_nc_u32_e32 v3, s10, v3
	v_add_co_u32 v20, vcc_lo, s20, v20
	v_add_co_ci_u32_e64 v21, null, s33, v21, vcc_lo
	v_cmp_ge_i32_e32 vcc_lo, v8, v1
	global_load_dwordx2 v[20:21], v[20:21], off
	s_or_b32 s56, vcc_lo, s56
	s_waitcnt vmcnt(0)
	global_store_dwordx2 v[18:19], v[20:21], off
	v_add_co_u32 v18, s6, 0x800, v18
	v_add_co_ci_u32_e64 v19, null, 0, v19, s6
	s_andn2_b32 exec_lo, exec_lo, s56
	s_cbranch_execnz .LBB4_66
.LBB4_67:                               ;   in Loop: Header=BB4_6 Depth=1
	s_or_b32 exec_lo, exec_lo, s7
	v_sub_nc_u32_e32 v4, s22, v2
	s_mov_b32 s6, exec_lo
                                        ; implicit-def: $vgpr1
	v_cmpx_ge_i32_e64 v0, v4
	s_xor_b32 s6, exec_lo, s6
; %bb.68:                               ;   in Loop: Header=BB4_6 Depth=1
	v_mul_lo_u32 v1, v40, s22
                                        ; implicit-def: $vgpr4
                                        ; implicit-def: $vgpr2
; %bb.69:                               ;   in Loop: Header=BB4_6 Depth=1
	s_andn2_saveexec_b32 s7, s6
	s_cbranch_execz .LBB4_73
; %bb.70:                               ;   in Loop: Header=BB4_6 Depth=1
	v_mul_lo_u32 v1, v40, s22
	v_mov_b32_e32 v8, v0
	s_mov_b32 s56, 0
	v_mad_u64_u32 v[18:19], null, s47, v2, v[0:1]
	v_add3_u32 v2, v0, v2, v1
	v_ashrrev_i32_e32 v3, 31, v2
	v_ashrrev_i32_e32 v19, 31, v18
	v_lshlrev_b64 v[20:21], 3, v[2:3]
	v_lshlrev_b64 v[18:19], 3, v[18:19]
	v_add_co_u32 v2, vcc_lo, s52, v18
	v_add_co_ci_u32_e64 v3, null, s53, v19, vcc_lo
	v_add_co_u32 v18, vcc_lo, s50, v20
	v_add_co_ci_u32_e64 v19, null, s51, v21, vcc_lo
	.p2align	6
.LBB4_71:                               ;   Parent Loop BB4_6 Depth=1
                                        ; =>  This Inner Loop Header: Depth=2
	global_load_dwordx2 v[20:21], v[2:3], off
	v_add_nc_u32_e32 v8, 0x100, v8
	v_add_co_u32 v2, vcc_lo, 0x800, v2
	v_add_co_ci_u32_e64 v3, null, 0, v3, vcc_lo
	v_cmp_ge_i32_e32 vcc_lo, v8, v4
	s_or_b32 s56, vcc_lo, s56
	s_waitcnt vmcnt(0)
	global_store_dwordx2 v[18:19], v[20:21], off
	v_add_co_u32 v18, s6, 0x800, v18
	v_add_co_ci_u32_e64 v19, null, 0, v19, s6
	s_andn2_b32 exec_lo, exec_lo, s56
	s_cbranch_execnz .LBB4_71
; %bb.72:                               ;   in Loop: Header=BB4_6 Depth=1
	s_or_b32 exec_lo, exec_lo, s56
.LBB4_73:                               ;   in Loop: Header=BB4_6 Depth=1
	s_or_b32 exec_lo, exec_lo, s7
	v_ashrrev_i32_e32 v2, 31, v1
	s_waitcnt_vscnt null, 0x0
	s_barrier
	buffer_gl0_inv
	s_and_saveexec_b32 s56, s5
	s_cbranch_execz .LBB4_81
; %bb.74:                               ;   in Loop: Header=BB4_6 Depth=1
	ds_read_b32 v18, v9 offset:3096
	v_lshlrev_b64 v[20:21], 3, v[1:2]
	v_add_co_u32 v3, s6, v29, v12
	v_add_co_ci_u32_e64 v4, null, v30, v13, s6
	v_mov_b32_e32 v8, v0
	v_add_co_u32 v42, s6, v16, v20
	v_add_co_ci_u32_e64 v43, null, v17, v21, s6
	s_mov_b32 s57, 0
	v_cmp_ne_u32_e32 vcc_lo, 0, v5
	s_waitcnt lgkmcnt(0)
	v_ashrrev_i32_e32 v19, 31, v18
	v_lshlrev_b64 v[18:19], 3, v[18:19]
	v_add_co_u32 v18, s6, s8, v18
	v_add_co_ci_u32_e64 v19, null, s9, v19, s6
	s_branch .LBB4_76
.LBB4_75:                               ;   in Loop: Header=BB4_76 Depth=2
	s_or_b32 exec_lo, exec_lo, s58
	v_lshlrev_b64 v[22:23], 3, v[8:9]
	v_add_nc_u32_e32 v8, 0x100, v8
	v_add_co_u32 v3, s7, 0x800, v3
	v_add_co_ci_u32_e64 v4, null, 0, v4, s7
	v_add_co_u32 v22, s6, v42, v22
	v_add_co_ci_u32_e64 v23, null, v43, v23, s6
	v_cmp_ge_i32_e64 s6, v8, v41
	global_load_dwordx2 v[24:25], v[22:23], off
	s_or_b32 s57, s6, s57
	s_waitcnt vmcnt(0)
	v_add_f64 v[20:21], v[24:25], -v[20:21]
	global_store_dwordx2 v[22:23], v[20:21], off
	s_andn2_b32 exec_lo, exec_lo, s57
	s_cbranch_execz .LBB4_81
.LBB4_76:                               ;   Parent Loop BB4_6 Depth=1
                                        ; =>  This Loop Header: Depth=2
                                        ;       Child Loop BB4_78 Depth 3
	v_mov_b32_e32 v20, 0
	v_mov_b32_e32 v21, 0
	s_and_saveexec_b32 s58, vcc_lo
	s_cbranch_execz .LBB4_75
; %bb.77:                               ;   in Loop: Header=BB4_76 Depth=2
	v_mov_b32_e32 v20, 0
	v_mov_b32_e32 v23, v4
	;; [unrolled: 1-line block ×7, first 2 shown]
	s_mov_b32 s59, 0
	.p2align	6
.LBB4_78:                               ;   Parent Loop BB4_6 Depth=1
                                        ;     Parent Loop BB4_76 Depth=2
                                        ; =>    This Inner Loop Header: Depth=3
	global_load_dwordx2 v[45:46], v[22:23], off
	global_load_dwordx2 v[47:48], v[24:25], off
	v_add_nc_u32_e32 v44, -1, v44
	v_add_co_u32 v24, s6, v24, s12
	v_add_co_ci_u32_e64 v25, null, s13, v25, s6
	v_cmp_eq_u32_e64 s6, 0, v44
	v_add_co_u32 v22, s7, v22, s36
	v_add_co_ci_u32_e64 v23, null, s37, v23, s7
	s_or_b32 s59, s6, s59
	s_waitcnt vmcnt(0)
	v_fma_f64 v[20:21], v[45:46], v[47:48], v[20:21]
	s_andn2_b32 exec_lo, exec_lo, s59
	s_cbranch_execnz .LBB4_78
; %bb.79:                               ;   in Loop: Header=BB4_76 Depth=2
	s_or_b32 exec_lo, exec_lo, s59
	s_branch .LBB4_75
.LBB4_80:                               ;   in Loop: Header=BB4_6 Depth=1
                                        ; implicit-def: $sgpr7
                                        ; implicit-def: $vgpr2
                                        ; implicit-def: $vgpr1
	s_cbranch_execnz .LBB4_208
	s_branch .LBB4_211
.LBB4_81:                               ;   in Loop: Header=BB4_6 Depth=1
	s_or_b32 exec_lo, exec_lo, s56
	s_waitcnt_vscnt null, 0x0
	s_barrier
	buffer_gl0_inv
	ds_read_b32 v3, v9 offset:3096
	v_bfrev_b32_e32 v8, -2
	s_mov_b32 s7, exec_lo
	s_waitcnt lgkmcnt(0)
	v_sub_nc_u32_e32 v20, v3, v5
	v_mov_b32_e32 v3, 0
	v_mov_b32_e32 v4, 0
	v_cmpx_lt_i32_e64 v0, v20
	s_cbranch_execz .LBB4_85
; %bb.82:                               ;   in Loop: Header=BB4_6 Depth=1
	v_lshlrev_b64 v[18:19], 3, v[1:2]
	v_mov_b32_e32 v3, 0
	v_mov_b32_e32 v4, 0
	v_bfrev_b32_e32 v8, -2
	v_mov_b32_e32 v21, v0
	s_mov_b32 s56, 0
	v_add_co_u32 v18, vcc_lo, v18, v12
	v_add_co_ci_u32_e64 v19, null, v19, v13, vcc_lo
	v_add_co_u32 v18, vcc_lo, v31, v18
	v_add_co_ci_u32_e64 v19, null, v32, v19, vcc_lo
	.p2align	6
.LBB4_83:                               ;   Parent Loop BB4_6 Depth=1
                                        ; =>  This Inner Loop Header: Depth=2
	global_load_dwordx2 v[22:23], v[18:19], off
	v_cmp_eq_u32_e32 vcc_lo, 0x7fffffff, v8
	v_add_nc_u32_e32 v24, 1, v21
	v_add_nc_u32_e32 v21, 0x100, v21
	v_add_co_u32 v18, s6, 0x800, v18
	v_add_co_ci_u32_e64 v19, null, 0, v19, s6
	v_cmp_ge_i32_e64 s6, v21, v20
	s_waitcnt vmcnt(0)
	v_cmp_lt_f64_e64 s57, v[3:4], |v[22:23]|
	v_and_b32_e32 v23, 0x7fffffff, v23
	s_or_b32 vcc_lo, s57, vcc_lo
	s_or_b32 s56, s6, s56
	v_cndmask_b32_e32 v4, v4, v23, vcc_lo
	v_cndmask_b32_e32 v3, v3, v22, vcc_lo
	;; [unrolled: 1-line block ×3, first 2 shown]
	s_andn2_b32 exec_lo, exec_lo, s56
	s_cbranch_execnz .LBB4_83
; %bb.84:                               ;   in Loop: Header=BB4_6 Depth=1
	s_or_b32 exec_lo, exec_lo, s56
.LBB4_85:                               ;   in Loop: Header=BB4_6 Depth=1
	s_or_b32 exec_lo, exec_lo, s7
	s_mov_b32 s56, exec_lo
	ds_write_b64 v27, v[3:4]
	ds_write_b32 v28, v8
	s_waitcnt lgkmcnt(0)
	s_barrier
	buffer_gl0_inv
	v_cmpx_lt_i32_e32 1, v20
	s_cbranch_execz .LBB4_121
; %bb.86:                               ;   in Loop: Header=BB4_6 Depth=1
	s_and_saveexec_b32 s7, s1
	s_cbranch_execz .LBB4_92
; %bb.87:                               ;   in Loop: Header=BB4_6 Depth=1
	ds_read_b64 v[18:19], v27 offset:1024
	ds_read_b32 v20, v28 offset:512
	s_mov_b32 s58, exec_lo
	s_waitcnt lgkmcnt(1)
	v_cmp_lt_f64_e64 s57, v[3:4], v[18:19]
	v_cmpx_nlt_f64_e32 v[3:4], v[18:19]
	s_cbranch_execz .LBB4_89
; %bb.88:                               ;   in Loop: Header=BB4_6 Depth=1
	v_cmp_eq_f64_e32 vcc_lo, v[3:4], v[18:19]
	s_waitcnt lgkmcnt(0)
	v_cmp_gt_i32_e64 s6, v8, v20
	s_andn2_b32 s57, s57, exec_lo
	s_and_b32 s6, vcc_lo, s6
	s_and_b32 s6, s6, exec_lo
	s_or_b32 s57, s57, s6
.LBB4_89:                               ;   in Loop: Header=BB4_6 Depth=1
	s_or_b32 exec_lo, exec_lo, s58
	s_and_saveexec_b32 s6, s57
	s_cbranch_execz .LBB4_91
; %bb.90:                               ;   in Loop: Header=BB4_6 Depth=1
	v_mov_b32_e32 v3, v18
	s_waitcnt lgkmcnt(0)
	v_mov_b32_e32 v8, v20
	v_mov_b32_e32 v4, v19
	ds_write_b64 v27, v[18:19]
	ds_write_b32 v28, v20
.LBB4_91:                               ;   in Loop: Header=BB4_6 Depth=1
	s_or_b32 exec_lo, exec_lo, s6
.LBB4_92:                               ;   in Loop: Header=BB4_6 Depth=1
	s_or_b32 exec_lo, exec_lo, s7
	s_waitcnt lgkmcnt(0)
	s_barrier
	buffer_gl0_inv
	s_and_saveexec_b32 s7, s2
	s_cbranch_execz .LBB4_98
; %bb.93:                               ;   in Loop: Header=BB4_6 Depth=1
	ds_read_b64 v[18:19], v27 offset:512
	ds_read_b32 v20, v28 offset:256
	s_mov_b32 s58, exec_lo
	s_waitcnt lgkmcnt(1)
	v_cmp_lt_f64_e64 s57, v[3:4], v[18:19]
	v_cmpx_nlt_f64_e32 v[3:4], v[18:19]
	s_cbranch_execz .LBB4_95
; %bb.94:                               ;   in Loop: Header=BB4_6 Depth=1
	v_cmp_eq_f64_e32 vcc_lo, v[3:4], v[18:19]
	s_waitcnt lgkmcnt(0)
	v_cmp_gt_i32_e64 s6, v8, v20
	s_andn2_b32 s57, s57, exec_lo
	s_and_b32 s6, vcc_lo, s6
	s_and_b32 s6, s6, exec_lo
	s_or_b32 s57, s57, s6
.LBB4_95:                               ;   in Loop: Header=BB4_6 Depth=1
	s_or_b32 exec_lo, exec_lo, s58
	s_and_saveexec_b32 s6, s57
	s_cbranch_execz .LBB4_97
; %bb.96:                               ;   in Loop: Header=BB4_6 Depth=1
	v_mov_b32_e32 v3, v18
	s_waitcnt lgkmcnt(0)
	v_mov_b32_e32 v8, v20
	v_mov_b32_e32 v4, v19
	ds_write_b64 v27, v[18:19]
	ds_write_b32 v28, v20
.LBB4_97:                               ;   in Loop: Header=BB4_6 Depth=1
	s_or_b32 exec_lo, exec_lo, s6
.LBB4_98:                               ;   in Loop: Header=BB4_6 Depth=1
	s_or_b32 exec_lo, exec_lo, s7
	s_waitcnt lgkmcnt(0)
	s_barrier
	buffer_gl0_inv
	s_and_b32 exec_lo, exec_lo, s3
	s_cbranch_execz .LBB4_121
; %bb.99:                               ;   in Loop: Header=BB4_6 Depth=1
	ds_read_b64 v[18:19], v27 offset:256
	ds_read_b32 v20, v28 offset:128
	s_mov_b32 s57, exec_lo
	s_waitcnt lgkmcnt(1)
	v_cmp_lt_f64_e64 s7, v[3:4], v[18:19]
	v_cmpx_nlt_f64_e32 v[3:4], v[18:19]
	s_cbranch_execz .LBB4_101
; %bb.100:                              ;   in Loop: Header=BB4_6 Depth=1
	v_cmp_eq_f64_e32 vcc_lo, v[3:4], v[18:19]
	s_waitcnt lgkmcnt(0)
	v_cmp_gt_i32_e64 s6, v8, v20
	s_andn2_b32 s7, s7, exec_lo
	s_and_b32 s6, vcc_lo, s6
	s_and_b32 s6, s6, exec_lo
	s_or_b32 s7, s7, s6
.LBB4_101:                              ;   in Loop: Header=BB4_6 Depth=1
	s_or_b32 exec_lo, exec_lo, s57
	s_and_saveexec_b32 s6, s7
	s_cbranch_execz .LBB4_103
; %bb.102:                              ;   in Loop: Header=BB4_6 Depth=1
	v_mov_b32_e32 v3, v18
	v_mov_b32_e32 v4, v19
	s_waitcnt lgkmcnt(0)
	v_mov_b32_e32 v8, v20
	ds_write_b64 v27, v[18:19]
	ds_write_b32 v28, v20
.LBB4_103:                              ;   in Loop: Header=BB4_6 Depth=1
	s_or_b32 exec_lo, exec_lo, s6
	ds_read_b64 v[18:19], v27 offset:128
	s_waitcnt lgkmcnt(1)
	ds_read_b32 v20, v28 offset:64
	s_mov_b32 s57, exec_lo
	s_waitcnt lgkmcnt(1)
	v_cmp_lt_f64_e64 s7, v[3:4], v[18:19]
	v_cmpx_nlt_f64_e32 v[3:4], v[18:19]
	s_cbranch_execz .LBB4_105
; %bb.104:                              ;   in Loop: Header=BB4_6 Depth=1
	v_cmp_eq_f64_e32 vcc_lo, v[3:4], v[18:19]
	s_waitcnt lgkmcnt(0)
	v_cmp_gt_i32_e64 s6, v8, v20
	s_andn2_b32 s7, s7, exec_lo
	s_and_b32 s6, vcc_lo, s6
	s_and_b32 s6, s6, exec_lo
	s_or_b32 s7, s7, s6
.LBB4_105:                              ;   in Loop: Header=BB4_6 Depth=1
	s_or_b32 exec_lo, exec_lo, s57
	s_and_saveexec_b32 s6, s7
	s_cbranch_execz .LBB4_107
; %bb.106:                              ;   in Loop: Header=BB4_6 Depth=1
	v_mov_b32_e32 v3, v18
	v_mov_b32_e32 v4, v19
	s_waitcnt lgkmcnt(0)
	v_mov_b32_e32 v8, v20
	ds_write_b64 v27, v[18:19]
	ds_write_b32 v28, v20
.LBB4_107:                              ;   in Loop: Header=BB4_6 Depth=1
	s_or_b32 exec_lo, exec_lo, s6
	ds_read_b64 v[18:19], v27 offset:64
	s_waitcnt lgkmcnt(1)
	;; [unrolled: 29-line block ×5, first 2 shown]
	ds_read_b32 v20, v28 offset:4
	s_waitcnt lgkmcnt(1)
	v_cmp_eq_f64_e32 vcc_lo, v[3:4], v[18:19]
	v_cmp_lt_f64_e64 s6, v[3:4], v[18:19]
	s_waitcnt lgkmcnt(0)
	v_cmp_gt_i32_e64 s7, v8, v20
	s_and_b32 s7, vcc_lo, s7
	s_or_b32 s6, s6, s7
	s_and_b32 exec_lo, exec_lo, s6
	s_cbranch_execz .LBB4_121
; %bb.120:                              ;   in Loop: Header=BB4_6 Depth=1
	ds_write_b64 v27, v[18:19]
	ds_write_b32 v28, v20
.LBB4_121:                              ;   in Loop: Header=BB4_6 Depth=1
	s_or_b32 exec_lo, exec_lo, s56
	s_and_saveexec_b32 s6, s0
	s_cbranch_execz .LBB4_123
; %bb.122:                              ;   in Loop: Header=BB4_6 Depth=1
	ds_read_b64 v[3:4], v9
	s_waitcnt lgkmcnt(0)
	ds_write_b64 v9, v[3:4] offset:3088
.LBB4_123:                              ;   in Loop: Header=BB4_6 Depth=1
	s_or_b32 exec_lo, exec_lo, s6
	ds_read_b32 v3, v9 offset:3096
	s_waitcnt lgkmcnt(0)
	v_cmp_le_i32_e32 vcc_lo, s46, v3
	v_readfirstlane_b32 s6, v3
	s_cbranch_vccnz .LBB4_168
; %bb.124:                              ;   in Loop: Header=BB4_6 Depth=1
	v_mov_b32_e32 v3, 0
	v_mov_b32_e32 v4, 0
	v_bfrev_b32_e32 v8, -2
	s_not_b32 s7, s6
	s_mov_b32 s57, exec_lo
	s_add_i32 s56, s22, s7
	v_cmpx_gt_i32_e64 s56, v0
	s_cbranch_execz .LBB4_128
; %bb.125:                              ;   in Loop: Header=BB4_6 Depth=1
	v_lshlrev_b64 v[2:3], 3, v[1:2]
	s_ashr_i32 s7, s6, 31
	s_lshl_b64 s[6:7], s[6:7], 3
	v_add_co_u32 v2, vcc_lo, s6, v2
	v_add_co_ci_u32_e64 v8, null, s7, v3, vcc_lo
	v_mov_b32_e32 v3, 0
	v_add_co_u32 v18, vcc_lo, v34, v2
	v_mov_b32_e32 v4, 0
	v_add_co_ci_u32_e64 v19, null, v35, v8, vcc_lo
	v_bfrev_b32_e32 v8, -2
	v_mov_b32_e32 v2, v0
	s_mov_b32 s7, 0
	.p2align	6
.LBB4_126:                              ;   Parent Loop BB4_6 Depth=1
                                        ; =>  This Inner Loop Header: Depth=2
	global_load_dwordx2 v[20:21], v[18:19], off
	v_cmp_eq_u32_e32 vcc_lo, 0x7fffffff, v8
	v_add_nc_u32_e32 v22, 1, v2
	v_add_nc_u32_e32 v2, 0x100, v2
	v_add_co_u32 v18, s6, 0x800, v18
	v_add_co_ci_u32_e64 v19, null, 0, v19, s6
	v_cmp_le_i32_e64 s6, s56, v2
	s_waitcnt vmcnt(0)
	v_cmp_lt_f64_e64 s58, v[3:4], |v[20:21]|
	v_and_b32_e32 v21, 0x7fffffff, v21
	s_or_b32 vcc_lo, s58, vcc_lo
	s_or_b32 s7, s6, s7
	v_cndmask_b32_e32 v4, v4, v21, vcc_lo
	v_cndmask_b32_e32 v3, v3, v20, vcc_lo
	;; [unrolled: 1-line block ×3, first 2 shown]
	s_andn2_b32 exec_lo, exec_lo, s7
	s_cbranch_execnz .LBB4_126
; %bb.127:                              ;   in Loop: Header=BB4_6 Depth=1
	s_or_b32 exec_lo, exec_lo, s7
.LBB4_128:                              ;   in Loop: Header=BB4_6 Depth=1
	s_or_b32 exec_lo, exec_lo, s57
	s_cmp_lt_i32 s56, 2
	ds_write_b64 v27, v[3:4]
	ds_write_b32 v28, v8
	s_waitcnt lgkmcnt(0)
	s_barrier
	buffer_gl0_inv
	s_cbranch_scc1 .LBB4_165
; %bb.129:                              ;   in Loop: Header=BB4_6 Depth=1
	s_and_saveexec_b32 s7, s1
	s_cbranch_execz .LBB4_135
; %bb.130:                              ;   in Loop: Header=BB4_6 Depth=1
	ds_read_b64 v[18:19], v27 offset:1024
	ds_read_b32 v2, v28 offset:512
	s_mov_b32 s57, exec_lo
	s_waitcnt lgkmcnt(1)
	v_cmp_lt_f64_e64 s56, v[3:4], v[18:19]
	v_cmpx_nlt_f64_e32 v[3:4], v[18:19]
	s_cbranch_execz .LBB4_132
; %bb.131:                              ;   in Loop: Header=BB4_6 Depth=1
	v_cmp_eq_f64_e32 vcc_lo, v[3:4], v[18:19]
	s_waitcnt lgkmcnt(0)
	v_cmp_gt_i32_e64 s6, v8, v2
	s_andn2_b32 s56, s56, exec_lo
	s_and_b32 s6, vcc_lo, s6
	s_and_b32 s6, s6, exec_lo
	s_or_b32 s56, s56, s6
.LBB4_132:                              ;   in Loop: Header=BB4_6 Depth=1
	s_or_b32 exec_lo, exec_lo, s57
	s_and_saveexec_b32 s6, s56
	s_cbranch_execz .LBB4_134
; %bb.133:                              ;   in Loop: Header=BB4_6 Depth=1
	v_mov_b32_e32 v3, v18
	s_waitcnt lgkmcnt(0)
	v_mov_b32_e32 v8, v2
	v_mov_b32_e32 v4, v19
	ds_write_b64 v27, v[18:19]
	ds_write_b32 v28, v2
.LBB4_134:                              ;   in Loop: Header=BB4_6 Depth=1
	s_or_b32 exec_lo, exec_lo, s6
.LBB4_135:                              ;   in Loop: Header=BB4_6 Depth=1
	s_or_b32 exec_lo, exec_lo, s7
	s_waitcnt lgkmcnt(0)
	s_barrier
	buffer_gl0_inv
	s_and_saveexec_b32 s7, s2
	s_cbranch_execz .LBB4_141
; %bb.136:                              ;   in Loop: Header=BB4_6 Depth=1
	ds_read_b64 v[18:19], v27 offset:512
	ds_read_b32 v2, v28 offset:256
	s_mov_b32 s57, exec_lo
	s_waitcnt lgkmcnt(1)
	v_cmp_lt_f64_e64 s56, v[3:4], v[18:19]
	v_cmpx_nlt_f64_e32 v[3:4], v[18:19]
	s_cbranch_execz .LBB4_138
; %bb.137:                              ;   in Loop: Header=BB4_6 Depth=1
	v_cmp_eq_f64_e32 vcc_lo, v[3:4], v[18:19]
	s_waitcnt lgkmcnt(0)
	v_cmp_gt_i32_e64 s6, v8, v2
	s_andn2_b32 s56, s56, exec_lo
	s_and_b32 s6, vcc_lo, s6
	s_and_b32 s6, s6, exec_lo
	s_or_b32 s56, s56, s6
.LBB4_138:                              ;   in Loop: Header=BB4_6 Depth=1
	s_or_b32 exec_lo, exec_lo, s57
	s_and_saveexec_b32 s6, s56
	s_cbranch_execz .LBB4_140
; %bb.139:                              ;   in Loop: Header=BB4_6 Depth=1
	v_mov_b32_e32 v3, v18
	s_waitcnt lgkmcnt(0)
	v_mov_b32_e32 v8, v2
	v_mov_b32_e32 v4, v19
	ds_write_b64 v27, v[18:19]
	ds_write_b32 v28, v2
.LBB4_140:                              ;   in Loop: Header=BB4_6 Depth=1
	s_or_b32 exec_lo, exec_lo, s6
.LBB4_141:                              ;   in Loop: Header=BB4_6 Depth=1
	s_or_b32 exec_lo, exec_lo, s7
	s_waitcnt lgkmcnt(0)
	s_barrier
	buffer_gl0_inv
	s_and_saveexec_b32 s56, s3
	s_cbranch_execz .LBB4_164
; %bb.142:                              ;   in Loop: Header=BB4_6 Depth=1
	ds_read_b64 v[18:19], v27 offset:256
	ds_read_b32 v2, v28 offset:128
	s_mov_b32 s57, exec_lo
	s_waitcnt lgkmcnt(1)
	v_cmp_lt_f64_e64 s7, v[3:4], v[18:19]
	v_cmpx_nlt_f64_e32 v[3:4], v[18:19]
	s_cbranch_execz .LBB4_144
; %bb.143:                              ;   in Loop: Header=BB4_6 Depth=1
	v_cmp_eq_f64_e32 vcc_lo, v[3:4], v[18:19]
	s_waitcnt lgkmcnt(0)
	v_cmp_gt_i32_e64 s6, v8, v2
	s_andn2_b32 s7, s7, exec_lo
	s_and_b32 s6, vcc_lo, s6
	s_and_b32 s6, s6, exec_lo
	s_or_b32 s7, s7, s6
.LBB4_144:                              ;   in Loop: Header=BB4_6 Depth=1
	s_or_b32 exec_lo, exec_lo, s57
	s_and_saveexec_b32 s6, s7
	s_cbranch_execz .LBB4_146
; %bb.145:                              ;   in Loop: Header=BB4_6 Depth=1
	v_mov_b32_e32 v3, v18
	v_mov_b32_e32 v4, v19
	s_waitcnt lgkmcnt(0)
	v_mov_b32_e32 v8, v2
	ds_write_b64 v27, v[18:19]
	ds_write_b32 v28, v2
.LBB4_146:                              ;   in Loop: Header=BB4_6 Depth=1
	s_or_b32 exec_lo, exec_lo, s6
	ds_read_b64 v[18:19], v27 offset:128
	s_waitcnt lgkmcnt(1)
	ds_read_b32 v2, v28 offset:64
	s_mov_b32 s57, exec_lo
	s_waitcnt lgkmcnt(1)
	v_cmp_lt_f64_e64 s7, v[3:4], v[18:19]
	v_cmpx_nlt_f64_e32 v[3:4], v[18:19]
	s_cbranch_execz .LBB4_148
; %bb.147:                              ;   in Loop: Header=BB4_6 Depth=1
	v_cmp_eq_f64_e32 vcc_lo, v[3:4], v[18:19]
	s_waitcnt lgkmcnt(0)
	v_cmp_gt_i32_e64 s6, v8, v2
	s_andn2_b32 s7, s7, exec_lo
	s_and_b32 s6, vcc_lo, s6
	s_and_b32 s6, s6, exec_lo
	s_or_b32 s7, s7, s6
.LBB4_148:                              ;   in Loop: Header=BB4_6 Depth=1
	s_or_b32 exec_lo, exec_lo, s57
	s_and_saveexec_b32 s6, s7
	s_cbranch_execz .LBB4_150
; %bb.149:                              ;   in Loop: Header=BB4_6 Depth=1
	v_mov_b32_e32 v3, v18
	v_mov_b32_e32 v4, v19
	s_waitcnt lgkmcnt(0)
	v_mov_b32_e32 v8, v2
	ds_write_b64 v27, v[18:19]
	ds_write_b32 v28, v2
.LBB4_150:                              ;   in Loop: Header=BB4_6 Depth=1
	s_or_b32 exec_lo, exec_lo, s6
	ds_read_b64 v[18:19], v27 offset:64
	s_waitcnt lgkmcnt(1)
	;; [unrolled: 29-line block ×5, first 2 shown]
	ds_read_b32 v2, v28 offset:4
	s_waitcnt lgkmcnt(1)
	v_cmp_eq_f64_e32 vcc_lo, v[3:4], v[18:19]
	v_cmp_lt_f64_e64 s6, v[3:4], v[18:19]
	s_waitcnt lgkmcnt(0)
	v_cmp_gt_i32_e64 s7, v8, v2
	s_and_b32 s7, vcc_lo, s7
	s_or_b32 s6, s6, s7
	s_and_b32 exec_lo, exec_lo, s6
	s_cbranch_execz .LBB4_164
; %bb.163:                              ;   in Loop: Header=BB4_6 Depth=1
	ds_write_b64 v27, v[18:19]
	ds_write_b32 v28, v2
.LBB4_164:                              ;   in Loop: Header=BB4_6 Depth=1
	s_or_b32 exec_lo, exec_lo, s56
.LBB4_165:                              ;   in Loop: Header=BB4_6 Depth=1
	s_and_saveexec_b32 s6, s0
	s_cbranch_execz .LBB4_167
; %bb.166:                              ;   in Loop: Header=BB4_6 Depth=1
	ds_read_b64 v[2:3], v9 offset:3088
	ds_read_b64 v[18:19], v9
	s_waitcnt lgkmcnt(0)
	v_cmp_lt_f64_e32 vcc_lo, v[2:3], v[18:19]
	v_cndmask_b32_e32 v3, v3, v19, vcc_lo
	v_cndmask_b32_e32 v2, v2, v18, vcc_lo
	ds_write_b64 v9, v[2:3] offset:3088
.LBB4_167:                              ;   in Loop: Header=BB4_6 Depth=1
	s_or_b32 exec_lo, exec_lo, s6
.LBB4_168:                              ;   in Loop: Header=BB4_6 Depth=1
	s_waitcnt lgkmcnt(0)
	s_barrier
	buffer_gl0_inv
	ds_read_b128 v[18:21], v9 offset:3072
	ds_read_b64 v[3:4], v9 offset:3088
	s_waitcnt lgkmcnt(0)
	v_div_scale_f64 v[22:23], null, v[3:4], v[3:4], v[20:21]
	v_rcp_f64_e32 v[24:25], v[22:23]
	v_fma_f64 v[42:43], -v[22:23], v[24:25], 1.0
	v_fma_f64 v[24:25], v[24:25], v[42:43], v[24:25]
	v_fma_f64 v[42:43], -v[22:23], v[24:25], 1.0
	v_fma_f64 v[24:25], v[24:25], v[42:43], v[24:25]
	v_div_scale_f64 v[42:43], vcc_lo, v[20:21], v[3:4], v[20:21]
	v_mul_f64 v[44:45], v[42:43], v[24:25]
	v_fma_f64 v[22:23], -v[22:23], v[44:45], v[42:43]
	v_div_fmas_f64 v[22:23], v[22:23], v[24:25], v[44:45]
	v_mul_f64 v[24:25], v[20:21], s[40:41]
	v_div_fixup_f64 v[20:21], v[22:23], v[3:4], v[20:21]
	v_mul_f64 v[20:21], v[24:25], v[20:21]
	v_cmp_ge_f64_e32 vcc_lo, v[18:19], v[20:21]
	s_cbranch_vccnz .LBB4_175
; %bb.169:                              ;   in Loop: Header=BB4_6 Depth=1
	ds_read_b32 v2, v9 offset:3096
	v_mul_f64 v[3:4], v[3:4], s[40:41]
	v_mov_b32_e32 v8, 2
	s_mov_b32 s56, 0
	s_mov_b32 s6, exec_lo
	s_waitcnt lgkmcnt(0)
	v_add_nc_u32_e32 v18, v2, v1
	v_ashrrev_i32_e32 v19, 31, v18
	v_lshlrev_b64 v[18:19], 3, v[18:19]
	v_add_co_u32 v18, vcc_lo, s8, v18
	v_add_co_ci_u32_e64 v19, null, s9, v19, vcc_lo
	global_load_dwordx2 v[18:19], v[18:19], off
	s_waitcnt vmcnt(0)
	v_cmpx_ge_f64_e64 |v[18:19]|, v[3:4]
	s_cbranch_execz .LBB4_174
; %bb.170:                              ;   in Loop: Header=BB4_6 Depth=1
	s_and_saveexec_b32 s7, s5
	s_cbranch_execz .LBB4_173
; %bb.171:                              ;   in Loop: Header=BB4_6 Depth=1
	v_mad_u64_u32 v[18:19], null, s49, v5, v[0:1]
	v_add3_u32 v3, v0, v5, v1
	v_mov_b32_e32 v1, v0
	v_ashrrev_i32_e32 v4, 31, v3
	v_ashrrev_i32_e32 v19, 31, v18
	v_lshlrev_b64 v[3:4], 3, v[3:4]
	v_lshlrev_b64 v[18:19], 3, v[18:19]
	v_add_co_u32 v3, vcc_lo, s50, v3
	v_add_co_ci_u32_e64 v4, null, s51, v4, vcc_lo
	v_add_co_u32 v18, vcc_lo, s50, v18
	v_add_co_ci_u32_e64 v19, null, s51, v19, vcc_lo
	.p2align	6
.LBB4_172:                              ;   Parent Loop BB4_6 Depth=1
                                        ; =>  This Inner Loop Header: Depth=2
	global_load_dwordx2 v[20:21], v[3:4], off
	v_add_nc_u32_e32 v1, 0x100, v1
	v_add_co_u32 v3, vcc_lo, 0x800, v3
	v_add_co_ci_u32_e64 v4, null, 0, v4, vcc_lo
	v_cmp_ge_i32_e32 vcc_lo, v1, v41
	s_or_b32 s56, vcc_lo, s56
	s_waitcnt vmcnt(0)
	global_store_dwordx2 v[18:19], v[20:21], off
	v_add_co_u32 v18, s5, 0x800, v18
	v_add_co_ci_u32_e64 v19, null, 0, v19, s5
	s_andn2_b32 exec_lo, exec_lo, s56
	s_cbranch_execnz .LBB4_172
.LBB4_173:                              ;   in Loop: Header=BB4_6 Depth=1
	s_or_b32 exec_lo, exec_lo, s7
	v_mov_b32_e32 v8, 1
	s_mov_b32 s56, exec_lo
	s_waitcnt_vscnt null, 0x0
	s_barrier
	buffer_gl0_inv
.LBB4_174:                              ;   in Loop: Header=BB4_6 Depth=1
	s_or_b32 exec_lo, exec_lo, s6
	s_branch .LBB4_176
.LBB4_175:                              ;   in Loop: Header=BB4_6 Depth=1
	v_mov_b32_e32 v8, 1
	v_mov_b32_e32 v2, v5
	s_mov_b32 s56, -1
.LBB4_176:                              ;   in Loop: Header=BB4_6 Depth=1
	v_add_nc_u32_e32 v1, v8, v5
	s_mov_b32 s57, exec_lo
	v_add_nc_u32_e32 v20, -1, v1
	v_cmpx_ne_u32_e64 v2, v20
	s_cbranch_execz .LBB4_192
; %bb.177:                              ;   in Loop: Header=BB4_6 Depth=1
	s_and_saveexec_b32 s5, s0
	s_cbranch_execz .LBB4_179
; %bb.178:                              ;   in Loop: Header=BB4_6 Depth=1
	v_mul_lo_u32 v3, v20, s47
	v_mul_lo_u32 v18, v2, s47
	v_ashrrev_i32_e32 v4, 31, v3
	v_ashrrev_i32_e32 v19, 31, v18
	v_lshlrev_b64 v[3:4], 3, v[3:4]
	v_lshlrev_b64 v[18:19], 3, v[18:19]
	v_add_co_u32 v3, vcc_lo, s20, v3
	v_add_co_ci_u32_e64 v4, null, s33, v4, vcc_lo
	v_add_co_u32 v18, vcc_lo, s20, v18
	v_add_co_ci_u32_e64 v19, null, s33, v19, vcc_lo
	global_load_dwordx2 v[3:4], v[3:4], off
	s_waitcnt vmcnt(0)
	global_store_dwordx2 v[18:19], v[3:4], off
.LBB4_179:                              ;   in Loop: Header=BB4_6 Depth=1
	s_or_b32 exec_lo, exec_lo, s5
	v_sub_nc_u32_e32 v21, v2, v1
	s_mov_b32 s6, exec_lo
	v_cmpx_lt_i32_e64 v0, v21
	s_cbranch_execz .LBB4_182
; %bb.180:                              ;   in Loop: Header=BB4_6 Depth=1
	v_add3_u32 v3, v0, v8, v5
	v_mad_u64_u32 v[18:19], null, v20, s21, v[1:2]
	v_mov_b32_e32 v19, v0
	s_mov_b32 s7, 0
	v_mad_u64_u32 v[3:4], null, s21, v3, v[2:3]
	.p2align	6
.LBB4_181:                              ;   Parent Loop BB4_6 Depth=1
                                        ; =>  This Inner Loop Header: Depth=2
	v_add_nc_u32_e32 v22, v18, v19
	v_ashrrev_i32_e32 v4, 31, v3
	v_add_nc_u32_e32 v19, 0x100, v19
	v_ashrrev_i32_e32 v23, 31, v22
	v_lshlrev_b64 v[24:25], 3, v[3:4]
	v_add_nc_u32_e32 v3, s10, v3
	v_lshlrev_b64 v[22:23], 3, v[22:23]
	v_add_co_u32 v24, s5, s20, v24
	v_add_co_ci_u32_e64 v25, null, s33, v25, s5
	v_add_co_u32 v22, vcc_lo, s20, v22
	v_add_co_ci_u32_e64 v23, null, s33, v23, vcc_lo
	v_cmp_ge_i32_e32 vcc_lo, v19, v21
	global_load_dwordx2 v[22:23], v[22:23], off
	s_or_b32 s7, vcc_lo, s7
	s_waitcnt vmcnt(0)
	global_store_dwordx2 v[24:25], v[22:23], off
	s_andn2_b32 exec_lo, exec_lo, s7
	s_cbranch_execnz .LBB4_181
.LBB4_182:                              ;   in Loop: Header=BB4_6 Depth=1
	s_or_b32 exec_lo, exec_lo, s6
	v_xad_u32 v18, v2, -1, s22
	s_mov_b32 s6, exec_lo
	v_cmpx_lt_i32_e64 v0, v18
	s_cbranch_execz .LBB4_185
; %bb.183:                              ;   in Loop: Header=BB4_6 Depth=1
	v_mul_lo_u32 v19, v20, s21
	v_mad_u64_u32 v[3:4], null, s47, v2, 1
	s_mov_b32 s7, 0
	v_add3_u32 v4, v2, v19, 1
	v_mov_b32_e32 v19, v0
	.p2align	6
.LBB4_184:                              ;   Parent Loop BB4_6 Depth=1
                                        ; =>  This Inner Loop Header: Depth=2
	v_add_nc_u32_e32 v20, v4, v19
	v_add_nc_u32_e32 v22, v3, v19
	;; [unrolled: 1-line block ×3, first 2 shown]
	v_ashrrev_i32_e32 v21, 31, v20
	v_ashrrev_i32_e32 v23, 31, v22
	v_lshlrev_b64 v[20:21], 3, v[20:21]
	v_lshlrev_b64 v[22:23], 3, v[22:23]
	v_add_co_u32 v20, vcc_lo, s20, v20
	v_add_co_ci_u32_e64 v21, null, s33, v21, vcc_lo
	v_cmp_ge_i32_e32 vcc_lo, v19, v18
	v_add_co_u32 v22, s5, s20, v22
	global_load_dwordx2 v[20:21], v[20:21], off
	v_add_co_ci_u32_e64 v23, null, s33, v23, s5
	s_or_b32 s7, vcc_lo, s7
	s_waitcnt vmcnt(0)
	global_store_dwordx2 v[22:23], v[20:21], off
	s_andn2_b32 exec_lo, exec_lo, s7
	s_cbranch_execnz .LBB4_184
.LBB4_185:                              ;   in Loop: Header=BB4_6 Depth=1
	s_or_b32 exec_lo, exec_lo, s6
	s_mov_b32 s5, exec_lo
	s_waitcnt_vscnt null, 0x0
	s_barrier
	buffer_gl0_inv
	v_cmpx_lt_u32_e64 v0, v5
	s_cbranch_execz .LBB4_188
; %bb.186:                              ;   in Loop: Header=BB4_6 Depth=1
	v_ashrrev_i32_e32 v3, 31, v1
	v_mov_b32_e32 v4, v36
	v_mov_b32_e32 v18, v0
	s_mov_b32 s6, 0
	s_inst_prefetch 0x1
	.p2align	6
.LBB4_187:                              ;   Parent Loop BB4_6 Depth=1
                                        ; =>  This Inner Loop Header: Depth=2
	v_add_nc_u32_e32 v19, v2, v4
	v_ashrrev_i32_e32 v22, 31, v4
	v_add_co_u32 v21, vcc_lo, v4, v1
	v_add_nc_u32_e32 v18, 0x100, v18
	v_ashrrev_i32_e32 v20, 31, v19
	v_add_co_ci_u32_e64 v22, null, v22, v3, vcc_lo
	v_add_nc_u32_e32 v4, s10, v4
	v_lshlrev_b64 v[19:20], 3, v[19:20]
	v_lshlrev_b64 v[21:22], 3, v[21:22]
	v_add_co_u32 v19, vcc_lo, s20, v19
	v_add_co_ci_u32_e64 v20, null, s33, v20, vcc_lo
	v_add_co_u32 v21, vcc_lo, s20, v21
	v_add_co_ci_u32_e64 v22, null, s33, v22, vcc_lo
	s_clause 0x1
	global_load_dwordx2 v[23:24], v[19:20], off
	global_load_dwordx2 v[41:42], v[21:22], off offset:-8
	v_cmp_ge_u32_e32 vcc_lo, v18, v5
	s_waitcnt vmcnt(1)
	global_store_dwordx2 v[21:22], v[23:24], off offset:-8
	s_waitcnt vmcnt(0)
	global_store_dwordx2 v[19:20], v[41:42], off
	s_or_b32 s6, vcc_lo, s6
	s_andn2_b32 exec_lo, exec_lo, s6
	s_cbranch_execnz .LBB4_187
.LBB4_188:                              ;   in Loop: Header=BB4_6 Depth=1
	s_inst_prefetch 0x2
	s_or_b32 exec_lo, exec_lo, s5
	v_cmp_lt_u32_e32 vcc_lo, v0, v1
	s_and_b32 exec_lo, exec_lo, vcc_lo
	s_cbranch_execz .LBB4_191
; %bb.189:                              ;   in Loop: Header=BB4_6 Depth=1
	v_add_co_u32 v4, vcc_lo, v33, v8
	v_add_co_ci_u32_e64 v8, null, 0, v37, vcc_lo
	v_add_nc_u32_e32 v3, v33, v2
	v_add_co_u32 v18, vcc_lo, v4, v5
	v_add_co_ci_u32_e64 v19, null, 0, v8, vcc_lo
	v_ashrrev_i32_e32 v4, 31, v3
	s_mov_b32 s5, 0
	s_mov_b64 s[6:7], s[8:9]
	v_lshlrev_b64 v[18:19], 3, v[18:19]
	v_lshlrev_b64 v[3:4], 3, v[3:4]
	v_add_co_u32 v8, vcc_lo, v18, -8
	v_add_co_ci_u32_e64 v18, null, -1, v19, vcc_lo
	v_mov_b32_e32 v19, v0
	.p2align	6
.LBB4_190:                              ;   Parent Loop BB4_6 Depth=1
                                        ; =>  This Inner Loop Header: Depth=2
	v_add_co_u32 v20, vcc_lo, s6, v3
	v_add_co_ci_u32_e64 v21, null, s7, v4, vcc_lo
	v_add_co_u32 v22, vcc_lo, s6, v8
	v_add_co_ci_u32_e64 v23, null, s7, v18, vcc_lo
	s_clause 0x1
	global_load_dwordx2 v[24:25], v[20:21], off
	global_load_dwordx2 v[41:42], v[22:23], off
	v_add_nc_u32_e32 v19, 0x100, v19
	s_add_u32 s6, s6, s38
	s_addc_u32 s7, s7, s39
	s_waitcnt vmcnt(1)
	global_store_dwordx2 v[22:23], v[24:25], off
	s_waitcnt vmcnt(0)
	global_store_dwordx2 v[20:21], v[41:42], off
	v_cmp_ge_u32_e32 vcc_lo, v19, v1
	s_or_b32 s5, vcc_lo, s5
	s_andn2_b32 exec_lo, exec_lo, s5
	s_cbranch_execnz .LBB4_190
.LBB4_191:                              ;   in Loop: Header=BB4_6 Depth=1
	s_waitcnt_vscnt null, 0x0
	s_barrier
	buffer_gl0_inv
.LBB4_192:                              ;   in Loop: Header=BB4_6 Depth=1
	s_or_b32 exec_lo, exec_lo, s57
	s_xor_b32 s5, s56, -1
	s_and_saveexec_b32 s6, s5
	s_xor_b32 s6, exec_lo, s6
	s_cbranch_execz .LBB4_200
; %bb.193:                              ;   in Loop: Header=BB4_6 Depth=1
	s_mov_b32 s7, exec_lo
	v_cmpx_gt_i32_e64 s48, v5
	s_cbranch_execz .LBB4_197
; %bb.194:                              ;   in Loop: Header=BB4_6 Depth=1
	v_add_nc_u32_e32 v1, v5, v7
	v_cmp_gt_i32_e32 vcc_lo, s22, v1
	s_and_b32 exec_lo, exec_lo, vcc_lo
	s_cbranch_execz .LBB4_197
; %bb.195:                              ;   in Loop: Header=BB4_6 Depth=1
	v_mul_lo_u32 v8, v40, s22
	s_mov_b32 s56, 0
	v_lshlrev_b64 v[3:4], 3, v[8:9]
	v_add_co_u32 v3, vcc_lo, v16, v3
	v_add_co_ci_u32_e64 v4, null, v17, v4, vcc_lo
	s_clause 0x1
	global_load_dwordx4 v[14:17], v[10:11], off
	global_load_dwordx2 v[3:4], v[3:4], off offset:8
	s_waitcnt vmcnt(1)
	v_div_scale_f64 v[20:21], null, v[16:17], v[16:17], v[14:15]
	s_waitcnt vmcnt(0)
	v_div_scale_f64 v[18:19], null, v[16:17], v[16:17], v[3:4]
	v_div_scale_f64 v[45:46], vcc_lo, v[3:4], v[16:17], v[3:4]
	v_rcp_f64_e32 v[24:25], v[20:21]
	v_rcp_f64_e32 v[22:23], v[18:19]
	v_fma_f64 v[43:44], -v[20:21], v[24:25], 1.0
	v_fma_f64 v[41:42], -v[18:19], v[22:23], 1.0
	v_fma_f64 v[24:25], v[24:25], v[43:44], v[24:25]
	v_fma_f64 v[22:23], v[22:23], v[41:42], v[22:23]
	v_fma_f64 v[43:44], -v[20:21], v[24:25], 1.0
	v_fma_f64 v[41:42], -v[18:19], v[22:23], 1.0
	v_fma_f64 v[24:25], v[24:25], v[43:44], v[24:25]
	v_fma_f64 v[22:23], v[22:23], v[41:42], v[22:23]
	v_div_scale_f64 v[41:42], s5, v[14:15], v[16:17], v[14:15]
	v_mul_f64 v[43:44], v[45:46], v[22:23]
	v_mul_f64 v[47:48], v[41:42], v[24:25]
	v_fma_f64 v[18:19], -v[18:19], v[43:44], v[45:46]
	v_fma_f64 v[20:21], -v[20:21], v[47:48], v[41:42]
	v_div_fmas_f64 v[18:19], v[18:19], v[22:23], v[43:44]
	s_mov_b32 vcc_lo, s5
	v_div_fmas_f64 v[20:21], v[20:21], v[24:25], v[47:48]
	v_div_fixup_f64 v[3:4], v[18:19], v[16:17], v[3:4]
	v_div_fixup_f64 v[14:15], v[20:21], v[16:17], v[14:15]
	v_fma_f64 v[18:19], v[3:4], v[14:15], -1.0
	v_mul_f64 v[16:17], v[16:17], v[18:19]
	v_div_scale_f64 v[18:19], null, v[16:17], v[16:17], 1.0
	v_div_scale_f64 v[24:25], vcc_lo, 1.0, v[16:17], 1.0
	v_rcp_f64_e32 v[20:21], v[18:19]
	v_fma_f64 v[22:23], -v[18:19], v[20:21], 1.0
	v_fma_f64 v[20:21], v[20:21], v[22:23], v[20:21]
	v_fma_f64 v[22:23], -v[18:19], v[20:21], 1.0
	v_fma_f64 v[20:21], v[20:21], v[22:23], v[20:21]
	v_mul_f64 v[22:23], v[24:25], v[20:21]
	v_fma_f64 v[18:19], -v[18:19], v[22:23], v[24:25]
	v_mul_lo_u32 v24, s47, v5
	v_div_fmas_f64 v[18:19], v[18:19], v[20:21], v[22:23]
	v_add_nc_u32_e32 v20, v7, v24
	v_mad_u64_u32 v[22:23], null, s49, v5, v[7:8]
	v_add_nc_u32_e32 v8, v1, v8
	v_ashrrev_i32_e32 v21, 31, v20
	v_ashrrev_i32_e32 v23, 31, v22
	v_lshlrev_b64 v[20:21], 3, v[20:21]
	v_lshlrev_b64 v[41:42], 3, v[22:23]
	v_add_co_u32 v20, vcc_lo, s52, v20
	v_add_co_ci_u32_e64 v21, null, s53, v21, vcc_lo
	v_div_fixup_f64 v[16:17], v[18:19], v[16:17], 1.0
	v_add_nc_u32_e32 v18, v38, v24
	v_lshlrev_b64 v[24:25], 3, v[8:9]
	v_add_co_u32 v22, vcc_lo, s50, v24
	v_add_co_ci_u32_e64 v23, null, s51, v25, vcc_lo
	v_add_co_u32 v24, vcc_lo, s50, v41
	v_add_co_ci_u32_e64 v25, null, s51, v42, vcc_lo
.LBB4_196:                              ;   Parent Loop BB4_6 Depth=1
                                        ; =>  This Inner Loop Header: Depth=2
	global_load_dwordx2 v[41:42], v[24:25], off
	global_load_dwordx2 v[43:44], v[22:23], off
	v_ashrrev_i32_e32 v19, 31, v18
	v_add_nc_u32_e32 v1, 0x100, v1
	v_cmp_le_i32_e32 vcc_lo, s22, v1
	s_or_b32 s56, vcc_lo, s56
	s_waitcnt vmcnt(0)
	v_fma_f64 v[41:42], v[3:4], v[41:42], -v[43:44]
	v_mul_f64 v[41:42], v[16:17], v[41:42]
	global_store_dwordx2 v[20:21], v[41:42], off
	global_load_dwordx2 v[41:42], v[22:23], off
	global_load_dwordx2 v[43:44], v[24:25], off
	s_waitcnt vmcnt(0)
	v_fma_f64 v[41:42], v[14:15], v[41:42], -v[43:44]
	v_lshlrev_b64 v[43:44], 3, v[18:19]
	v_add_nc_u32_e32 v18, 0x100, v18
	v_add_co_u32 v43, s5, s20, v43
	v_add_co_ci_u32_e64 v44, null, s33, v44, s5
	v_add_co_u32 v20, s5, 0x800, v20
	v_add_co_ci_u32_e64 v21, null, 0, v21, s5
	;; [unrolled: 2-line block ×4, first 2 shown]
	v_mul_f64 v[41:42], v[16:17], v[41:42]
	global_store_dwordx2 v[43:44], v[41:42], off
	s_andn2_b32 exec_lo, exec_lo, s56
	s_cbranch_execnz .LBB4_196
.LBB4_197:                              ;   in Loop: Header=BB4_6 Depth=1
	s_or_b32 exec_lo, exec_lo, s7
	s_and_saveexec_b32 s5, s0
	s_cbranch_execz .LBB4_199
; %bb.198:                              ;   in Loop: Header=BB4_6 Depth=1
	global_load_dwordx2 v[3:4], v[10:11], off
	v_mul_lo_u32 v14, v5, s21
	v_add_co_u32 v1, vcc_lo, s20, v12
	v_add_co_ci_u32_e64 v8, null, s33, v13, vcc_lo
	v_ashrrev_i32_e32 v15, 31, v14
	v_lshlrev_b64 v[14:15], 3, v[14:15]
	v_add_co_u32 v12, vcc_lo, v1, v14
	v_add_co_ci_u32_e64 v13, null, v8, v15, vcc_lo
	s_waitcnt vmcnt(0)
	global_store_dwordx2 v[12:13], v[3:4], off
	global_load_dwordx2 v[3:4], v[10:11], off offset:8
	v_mul_lo_u32 v10, v40, s49
	v_ashrrev_i32_e32 v11, 31, v10
	v_lshlrev_b64 v[10:11], 3, v[10:11]
	v_add_co_u32 v10, vcc_lo, s8, v10
	v_add_co_ci_u32_e64 v11, null, s9, v11, vcc_lo
	s_waitcnt vmcnt(0)
	global_store_dwordx2 v[12:13], v[3:4], off offset:8
	global_load_dwordx2 v[3:4], v[10:11], off
	v_mul_lo_u32 v10, v40, s47
	v_ashrrev_i32_e32 v11, 31, v10
	v_lshlrev_b64 v[10:11], 3, v[10:11]
	v_add_co_u32 v10, vcc_lo, s20, v10
	v_add_co_ci_u32_e64 v11, null, s33, v11, vcc_lo
	s_waitcnt vmcnt(0)
	global_store_dwordx2 v[10:11], v[3:4], off
.LBB4_199:                              ;   in Loop: Header=BB4_6 Depth=1
	s_or_b32 exec_lo, exec_lo, s5
	s_waitcnt_vscnt null, 0x0
	s_barrier
	buffer_gl0_inv
                                        ; implicit-def: $vgpr10_vgpr11
                                        ; implicit-def: $vgpr14_vgpr15
                                        ; implicit-def: $vgpr39
.LBB4_200:                              ;   in Loop: Header=BB4_6 Depth=1
	s_or_saveexec_b32 s6, s6
	v_mov_b32_e32 v1, 2
	s_mov_b32 s5, 0
	s_mov_b32 s7, 0
	s_xor_b32 exec_lo, exec_lo, s6
	s_cbranch_execz .LBB4_207
; %bb.201:                              ;   in Loop: Header=BB4_6 Depth=1
	global_load_dwordx2 v[3:4], v[10:11], off
	s_and_saveexec_b32 s7, s0
	s_cbranch_execz .LBB4_203
; %bb.202:                              ;   in Loop: Header=BB4_6 Depth=1
	v_mul_lo_u32 v10, v5, s47
	v_ashrrev_i32_e32 v11, 31, v10
	v_lshlrev_b64 v[10:11], 3, v[10:11]
	v_add_co_u32 v10, vcc_lo, s20, v10
	v_add_co_ci_u32_e64 v11, null, s33, v11, vcc_lo
	s_waitcnt vmcnt(0)
	global_store_dwordx2 v[10:11], v[3:4], off
.LBB4_203:                              ;   in Loop: Header=BB4_6 Depth=1
	s_or_b32 exec_lo, exec_lo, s7
	s_and_saveexec_b32 s7, s4
	s_cbranch_execz .LBB4_206
; %bb.204:                              ;   in Loop: Header=BB4_6 Depth=1
	s_waitcnt vmcnt(0)
	v_div_scale_f64 v[10:11], null, v[3:4], v[3:4], 1.0
	v_mul_lo_u32 v1, v5, s21
	s_mov_b32 s56, 0
	v_ashrrev_i32_e32 v8, 31, v1
	v_rcp_f64_e32 v[12:13], v[10:11]
	v_fma_f64 v[16:17], -v[10:11], v[12:13], 1.0
	v_fma_f64 v[12:13], v[12:13], v[16:17], v[12:13]
	v_fma_f64 v[16:17], -v[10:11], v[12:13], 1.0
	v_fma_f64 v[12:13], v[12:13], v[16:17], v[12:13]
	v_div_scale_f64 v[16:17], vcc_lo, 1.0, v[3:4], 1.0
	v_mul_f64 v[18:19], v[16:17], v[12:13]
	v_fma_f64 v[10:11], -v[10:11], v[18:19], v[16:17]
	v_div_fmas_f64 v[10:11], v[10:11], v[12:13], v[18:19]
	v_div_fixup_f64 v[3:4], v[10:11], v[3:4], 1.0
	v_mov_b32_e32 v10, v0
	s_inst_prefetch 0x1
	.p2align	6
.LBB4_205:                              ;   Parent Loop BB4_6 Depth=1
                                        ; =>  This Inner Loop Header: Depth=2
	v_add_nc_u32_e32 v13, v5, v10
	v_add_nc_u32_e32 v10, 0x100, v10
	v_add_co_u32 v11, vcc_lo, v13, v14
	v_add_co_ci_u32_e64 v12, null, 0, v15, vcc_lo
	v_lshlrev_b64 v[11:12], 3, v[11:12]
	v_add_co_u32 v11, vcc_lo, s8, v11
	v_add_co_ci_u32_e64 v12, null, s9, v12, vcc_lo
	v_add_co_u32 v16, vcc_lo, v13, v1
	v_add_co_ci_u32_e64 v17, null, 0, v8, vcc_lo
	global_load_dwordx2 v[11:12], v[11:12], off offset:8
	v_cmp_ge_i32_e32 vcc_lo, v10, v39
	v_lshlrev_b64 v[16:17], 3, v[16:17]
	s_or_b32 s56, vcc_lo, s56
	v_add_co_u32 v16, s4, s20, v16
	v_add_co_ci_u32_e64 v17, null, s33, v17, s4
	s_waitcnt vmcnt(0)
	v_mul_f64 v[11:12], v[3:4], v[11:12]
	global_store_dwordx2 v[16:17], v[11:12], off offset:8
	s_andn2_b32 exec_lo, exec_lo, s56
	s_cbranch_execnz .LBB4_205
.LBB4_206:                              ;   in Loop: Header=BB4_6 Depth=1
	s_inst_prefetch 0x2
	s_or_b32 exec_lo, exec_lo, s7
	v_mov_b32_e32 v1, 1
	s_mov_b32 s7, exec_lo
	s_waitcnt vmcnt(0)
	s_waitcnt_vscnt null, 0x0
	s_barrier
	buffer_gl0_inv
.LBB4_207:                              ;   in Loop: Header=BB4_6 Depth=1
	s_or_b32 exec_lo, exec_lo, s6
	s_and_b32 vcc_lo, exec_lo, s5
	s_cbranch_vccz .LBB4_211
.LBB4_208:                              ;   in Loop: Header=BB4_6 Depth=1
	ds_read_b32 v1, v9 offset:3100
	s_waitcnt lgkmcnt(0)
	v_readfirstlane_b32 s4, v1
	s_cmp_eq_u32 s4, 0
	s_cselect_b32 s4, -1, 0
	s_and_b32 s5, s0, s4
	s_and_saveexec_b32 s4, s5
; %bb.209:                              ;   in Loop: Header=BB4_6 Depth=1
	ds_write_b32 v9, v40 offset:3100
; %bb.210:                              ;   in Loop: Header=BB4_6 Depth=1
	s_or_b32 exec_lo, exec_lo, s4
	v_mov_b32_e32 v1, 1
	v_mov_b32_e32 v2, v5
	s_mov_b32 s7, -1
.LBB4_211:                              ;   in Loop: Header=BB4_6 Depth=1
	s_and_saveexec_b32 s4, s0
	s_cbranch_execz .LBB4_4
; %bb.212:                              ;   in Loop: Header=BB4_6 Depth=1
	v_lshlrev_b64 v[3:4], 2, v[5:6]
	s_xor_b32 s5, s7, -1
	v_add_co_u32 v3, vcc_lo, s42, v3
	v_add_co_ci_u32_e64 v4, null, s43, v4, vcc_lo
	s_and_saveexec_b32 s6, s5
	s_xor_b32 s5, exec_lo, s6
	s_cbranch_execz .LBB4_214
; %bb.213:                              ;   in Loop: Header=BB4_6 Depth=1
	v_not_b32_e32 v10, v2
                                        ; implicit-def: $vgpr2
	v_mov_b32_e32 v11, v10
	global_store_dwordx2 v[3:4], v[10:11], off
                                        ; implicit-def: $vgpr3_vgpr4
.LBB4_214:                              ;   in Loop: Header=BB4_6 Depth=1
	s_andn2_saveexec_b32 s5, s5
	s_cbranch_execz .LBB4_4
; %bb.215:                              ;   in Loop: Header=BB4_6 Depth=1
	v_add_nc_u32_e32 v2, 1, v2
	global_store_dword v[3:4], v2, off
	s_branch .LBB4_4
.LBB4_216:
	s_or_b32 exec_lo, exec_lo, s11
	s_and_saveexec_b32 s1, s0
	s_cbranch_execz .LBB4_218
.LBB4_217:
	v_mov_b32_e32 v1, 0
	s_lshl_b64 s[2:3], s[24:25], 2
	s_add_u32 s4, s16, s2
	s_addc_u32 s5, s17, s3
	ds_read_b32 v2, v1 offset:3100
	s_add_u32 s2, s14, s2
	s_addc_u32 s3, s15, s3
	global_store_dword v1, v5, s[4:5]
	s_waitcnt lgkmcnt(0)
	global_store_dword v1, v2, s[2:3]
.LBB4_218:
	s_or_b32 exec_lo, exec_lo, s1
	s_mov_b32 s10, exec_lo
	v_cmpx_gt_i32_e64 s22, v5
	s_cbranch_execz .LBB4_239
; %bb.219:
	v_ashrrev_i32_e32 v6, 31, v5
	s_add_u32 s6, s26, s34
	s_addc_u32 s7, s27, s35
	s_ashr_i32 s1, s23, 31
	s_mov_b32 s0, s23
	v_lshlrev_b64 v[1:2], 3, v[5:6]
	s_ashr_i32 s5, s22, 31
	s_mov_b32 s4, s22
	s_lshl_b64 s[2:3], s[0:1], 3
	s_lshl_b64 s[4:5], s[4:5], 3
	s_add_u32 s0, s28, s30
	s_addc_u32 s1, s29, s31
	v_add_co_u32 v3, s0, s0, v1
	v_add_co_ci_u32_e64 v4, null, s1, v2, s0
	v_add_co_u32 v1, s0, s6, v1
	v_add_co_ci_u32_e64 v2, null, s7, v2, s0
	;; [unrolled: 2-line block ×3, first 2 shown]
	v_mov_b32_e32 v4, 0
	v_add_co_u32 v6, s0, s18, v3
	v_add_co_ci_u32_e64 v7, null, s19, v7, s0
	v_mov_b32_e32 v8, v5
	s_ashr_i32 s1, s21, 31
	s_mov_b32 s0, s21
	s_mov_b32 s11, 0
	s_lshl_b64 s[6:7], s[0:1], 3
	v_cmp_ne_u32_e32 vcc_lo, 0, v5
	s_branch .LBB4_221
.LBB4_220:                              ;   in Loop: Header=BB4_221 Depth=1
	s_or_b32 exec_lo, exec_lo, s1
	v_add_nc_u32_e32 v8, s23, v8
	v_add_co_u32 v1, s0, v1, s2
	v_add_co_ci_u32_e64 v2, null, s3, v2, s0
	v_cmp_le_i32_e64 s0, s22, v8
	v_add_co_u32 v6, s1, v6, s2
	v_add_co_ci_u32_e64 v7, null, s3, v7, s1
	s_or_b32 s11, s0, s11
	s_andn2_b32 exec_lo, exec_lo, s11
	s_cbranch_execz .LBB4_239
.LBB4_221:                              ; =>This Loop Header: Depth=1
                                        ;     Child Loop BB4_224 Depth 2
                                        ;       Child Loop BB4_227 Depth 3
                                        ;         Child Loop BB4_229 Depth 4
                                        ;     Child Loop BB4_235 Depth 2
                                        ;       Child Loop BB4_237 Depth 3
	v_sub_nc_u32_e32 v9, s22, v8
	s_mov_b32 s12, exec_lo
	v_min_i32_e32 v24, s23, v9
	v_add_nc_u32_e32 v10, v24, v8
	v_cmpx_lt_i32_e32 0, v24
	s_cbranch_execz .LBB4_231
; %bb.222:                              ;   in Loop: Header=BB4_221 Depth=1
	v_mov_b32_e32 v12, v7
	v_mov_b32_e32 v14, v2
	;; [unrolled: 1-line block ×5, first 2 shown]
	s_mov_b32 s13, 0
	s_branch .LBB4_224
.LBB4_223:                              ;   in Loop: Header=BB4_224 Depth=2
	s_or_b32 exec_lo, exec_lo, s14
	v_add_nc_u32_e32 v15, 1, v15
	v_add_co_u32 v13, s0, v13, 8
	v_add_co_ci_u32_e64 v14, null, 0, v14, s0
	v_cmp_ge_i32_e64 s0, v15, v10
	v_add_co_u32 v11, s1, v11, 8
	v_add_co_ci_u32_e64 v12, null, 0, v12, s1
	s_or_b32 s13, s0, s13
	s_andn2_b32 exec_lo, exec_lo, s13
	s_cbranch_execz .LBB4_231
.LBB4_224:                              ;   Parent Loop BB4_221 Depth=1
                                        ; =>  This Loop Header: Depth=2
                                        ;       Child Loop BB4_227 Depth 3
                                        ;         Child Loop BB4_229 Depth 4
	v_sub_nc_u32_e32 v25, v10, v15
	s_mov_b32 s14, exec_lo
	v_cmpx_lt_i32_e64 v0, v25
	s_cbranch_execz .LBB4_223
; %bb.225:                              ;   in Loop: Header=BB4_224 Depth=2
	v_mul_lo_u32 v17, v15, s21
	v_ashrrev_i32_e32 v16, 31, v15
	s_mov_b32 s15, 0
	v_lshlrev_b64 v[19:20], 3, v[15:16]
	v_ashrrev_i32_e32 v18, 31, v17
	v_add_co_u32 v3, s0, s20, v19
	v_lshlrev_b64 v[21:22], 3, v[17:18]
	v_add_co_ci_u32_e64 v18, null, s33, v20, s0
	v_mov_b32_e32 v17, v12
	v_mov_b32_e32 v16, v11
	v_add_co_u32 v27, s0, v3, v21
	v_add_co_ci_u32_e64 v28, null, v18, v22, s0
	v_mov_b32_e32 v3, v0
	s_branch .LBB4_227
.LBB4_226:                              ;   in Loop: Header=BB4_227 Depth=3
	s_or_b32 exec_lo, exec_lo, s16
	v_lshlrev_b64 v[20:21], 3, v[3:4]
	v_add_nc_u32_e32 v3, 0x100, v3
	v_add_co_u32 v16, s1, 0x800, v16
	v_add_co_ci_u32_e64 v17, null, 0, v17, s1
	v_add_co_u32 v20, s0, v27, v20
	v_add_co_ci_u32_e64 v21, null, v28, v21, s0
	v_cmp_ge_i32_e64 s0, v3, v25
	global_load_dwordx2 v[22:23], v[20:21], off
	s_or_b32 s15, s0, s15
	s_waitcnt vmcnt(0)
	v_add_f64 v[18:19], v[22:23], -v[18:19]
	global_store_dwordx2 v[20:21], v[18:19], off
	s_andn2_b32 exec_lo, exec_lo, s15
	s_cbranch_execz .LBB4_223
.LBB4_227:                              ;   Parent Loop BB4_221 Depth=1
                                        ;     Parent Loop BB4_224 Depth=2
                                        ; =>    This Loop Header: Depth=3
                                        ;         Child Loop BB4_229 Depth 4
	v_mov_b32_e32 v18, 0
	v_mov_b32_e32 v19, 0
	s_and_saveexec_b32 s16, vcc_lo
	s_cbranch_execz .LBB4_226
; %bb.228:                              ;   in Loop: Header=BB4_227 Depth=3
	v_mov_b32_e32 v18, 0
	v_mov_b32_e32 v21, v17
	;; [unrolled: 1-line block ×7, first 2 shown]
	s_mov_b32 s17, 0
	.p2align	6
.LBB4_229:                              ;   Parent Loop BB4_221 Depth=1
                                        ;     Parent Loop BB4_224 Depth=2
                                        ;       Parent Loop BB4_227 Depth=3
                                        ; =>      This Inner Loop Header: Depth=4
	global_load_dwordx2 v[30:31], v[20:21], off
	global_load_dwordx2 v[32:33], v[22:23], off
	v_add_nc_u32_e32 v29, -1, v29
	v_add_co_u32 v22, s0, v22, s4
	v_add_co_ci_u32_e64 v23, null, s5, v23, s0
	v_cmp_eq_u32_e64 s0, 0, v29
	v_add_co_u32 v20, s1, v20, s6
	v_add_co_ci_u32_e64 v21, null, s7, v21, s1
	s_or_b32 s17, s0, s17
	s_waitcnt vmcnt(0)
	v_fma_f64 v[18:19], v[30:31], v[32:33], v[18:19]
	s_andn2_b32 exec_lo, exec_lo, s17
	s_cbranch_execnz .LBB4_229
; %bb.230:                              ;   in Loop: Header=BB4_227 Depth=3
	s_or_b32 exec_lo, exec_lo, s17
	s_branch .LBB4_226
.LBB4_231:                              ;   in Loop: Header=BB4_221 Depth=1
	s_or_b32 exec_lo, exec_lo, s12
	s_mov_b32 s1, exec_lo
	v_cmpx_gt_i32_e64 s22, v10
	s_cbranch_execz .LBB4_220
; %bb.232:                              ;   in Loop: Header=BB4_221 Depth=1
	v_sub_nc_u32_e32 v15, v9, v24
	v_mul_lo_u32 v16, v15, v24
	v_cmp_lt_i32_e64 s0, v0, v16
	s_and_b32 exec_lo, exec_lo, s0
	s_cbranch_execz .LBB4_220
; %bb.233:                              ;   in Loop: Header=BB4_221 Depth=1
	v_sub_nc_u32_e32 v3, 0, v15
	v_ashrrev_i32_e32 v11, 31, v10
	v_mul_lo_u32 v12, v8, s21
	v_ashrrev_i32_e32 v9, 31, v8
	v_ashrrev_i32_e32 v18, 31, v15
	v_max_i32_e32 v17, v15, v3
	v_lshlrev_b64 v[10:11], 3, v[10:11]
	v_mov_b32_e32 v27, v0
	v_lshlrev_b64 v[21:22], 3, v[8:9]
	s_mov_b32 s12, 0
	v_cvt_f32_u32_e32 v3, v17
	v_sub_nc_u32_e32 v13, 0, v17
	v_add_co_u32 v19, s0, s20, v10
	v_add_co_ci_u32_e64 v20, null, s33, v11, s0
	v_rcp_iflag_f32_e32 v3, v3
	v_add_co_u32 v21, s0, s8, v21
	v_add_co_ci_u32_e64 v22, null, s9, v22, s0
	v_mul_f32_e32 v3, 0x4f7ffffe, v3
	v_cvt_u32_f32_e32 v3, v3
	v_mul_lo_u32 v14, v13, v3
	v_ashrrev_i32_e32 v13, 31, v12
	v_lshlrev_b64 v[9:10], 3, v[12:13]
	v_mul_hi_u32 v11, v3, v14
	v_add_co_u32 v23, s0, v19, v9
	v_add_co_ci_u32_e64 v24, null, v20, v10, s0
	v_add_nc_u32_e32 v25, v3, v11
	s_branch .LBB4_235
.LBB4_234:                              ;   in Loop: Header=BB4_235 Depth=2
	s_or_b32 exec_lo, exec_lo, s13
	v_mad_u64_u32 v[11:12], null, v28, s21, v[3:4]
	v_add_nc_u32_e32 v27, 0x100, v27
	v_ashrrev_i32_e32 v12, 31, v11
	v_lshlrev_b64 v[11:12], 3, v[11:12]
	v_add_co_u32 v11, s0, v23, v11
	v_add_co_ci_u32_e64 v12, null, v24, v12, s0
	v_cmp_ge_i32_e64 s0, v27, v16
	global_load_dwordx2 v[13:14], v[11:12], off
	s_or_b32 s12, s0, s12
	s_waitcnt vmcnt(0)
	v_add_f64 v[9:10], v[13:14], -v[9:10]
	global_store_dwordx2 v[11:12], v[9:10], off
	s_andn2_b32 exec_lo, exec_lo, s12
	s_cbranch_execz .LBB4_220
.LBB4_235:                              ;   Parent Loop BB4_221 Depth=1
                                        ; =>  This Loop Header: Depth=2
                                        ;       Child Loop BB4_237 Depth 3
	v_mul_hi_u32 v3, v27, v25
	v_mul_lo_u32 v9, v3, v17
	v_add_nc_u32_e32 v10, 1, v3
	v_sub_nc_u32_e32 v9, v27, v9
	v_sub_nc_u32_e32 v11, v9, v17
	v_cmp_ge_u32_e64 s0, v9, v17
	v_cndmask_b32_e64 v3, v3, v10, s0
	v_cndmask_b32_e64 v9, v9, v11, s0
	v_add_nc_u32_e32 v10, 1, v3
	v_cmp_ge_u32_e64 s0, v9, v17
	v_cndmask_b32_e64 v3, v3, v10, s0
	v_mov_b32_e32 v9, 0
	v_mov_b32_e32 v10, 0
	v_xor_b32_e32 v3, v3, v18
	v_sub_nc_u32_e32 v28, v3, v18
	v_mul_lo_u32 v3, v28, v15
	v_sub_nc_u32_e32 v3, v27, v3
	s_and_saveexec_b32 s13, vcc_lo
	s_cbranch_execz .LBB4_234
; %bb.236:                              ;   in Loop: Header=BB4_235 Depth=2
	v_mov_b32_e32 v9, 0
	v_mov_b32_e32 v10, 0
	v_mov_b32_e32 v11, v3
	v_mov_b32_e32 v13, v28
	v_mov_b32_e32 v29, v5
	s_mov_b32 s14, 0
	.p2align	6
.LBB4_237:                              ;   Parent Loop BB4_221 Depth=1
                                        ;     Parent Loop BB4_235 Depth=2
                                        ; =>    This Inner Loop Header: Depth=3
	v_ashrrev_i32_e32 v12, 31, v11
	v_ashrrev_i32_e32 v14, 31, v13
	v_add_nc_u32_e32 v29, -1, v29
	v_lshlrev_b64 v[30:31], 3, v[11:12]
	v_lshlrev_b64 v[32:33], 3, v[13:14]
	v_add_nc_u32_e32 v13, s22, v13
	v_add_nc_u32_e32 v11, s21, v11
	v_add_co_u32 v30, s0, v19, v30
	v_add_co_ci_u32_e64 v31, null, v20, v31, s0
	v_add_co_u32 v32, s0, v21, v32
	v_add_co_ci_u32_e64 v33, null, v22, v33, s0
	global_load_dwordx2 v[30:31], v[30:31], off
	global_load_dwordx2 v[32:33], v[32:33], off
	v_cmp_eq_u32_e64 s0, 0, v29
	s_or_b32 s14, s0, s14
	s_waitcnt vmcnt(0)
	v_fma_f64 v[9:10], v[30:31], v[32:33], v[9:10]
	s_andn2_b32 exec_lo, exec_lo, s14
	s_cbranch_execnz .LBB4_237
; %bb.238:                              ;   in Loop: Header=BB4_235 Depth=2
	s_or_b32 exec_lo, exec_lo, s14
	s_branch .LBB4_234
.LBB4_239:
	s_or_b32 exec_lo, exec_lo, s10
	s_waitcnt lgkmcnt(0)
	s_waitcnt_vscnt null, 0x0
	s_barrier
	buffer_gl0_inv
	s_mov_b32 s0, exec_lo
	v_cmpx_lt_i32_e32 1, v5
	s_cbranch_execz .LBB4_247
; %bb.240:
	v_mov_b32_e32 v2, 0
	s_lshl_b32 s1, s21, 8
	s_mov_b32 s2, 0
	s_branch .LBB4_243
.LBB4_241:                              ;   in Loop: Header=BB4_243 Depth=1
	s_inst_prefetch 0x2
	s_waitcnt_vscnt null, 0x0
	s_barrier
	buffer_gl0_inv
.LBB4_242:                              ;   in Loop: Header=BB4_243 Depth=1
	s_or_b32 exec_lo, exec_lo, s0
	v_cmp_gt_u32_e32 vcc_lo, 2, v3
	v_mov_b32_e32 v5, v3
	s_or_b32 s2, vcc_lo, s2
	s_andn2_b32 exec_lo, exec_lo, s2
	s_cbranch_execz .LBB4_247
.LBB4_243:                              ; =>This Loop Header: Depth=1
                                        ;     Child Loop BB4_246 Depth 2
	v_add_nc_u32_e32 v1, -1, v5
	v_add_nc_u32_e32 v6, -2, v5
	v_lshlrev_b64 v[3:4], 2, v[1:2]
	v_add_co_u32 v3, vcc_lo, s42, v3
	v_add_co_ci_u32_e64 v4, null, s43, v4, vcc_lo
	global_load_dword v3, v[3:4], off
	s_waitcnt vmcnt(0)
	v_not_b32_e32 v4, v3
	v_add_nc_u32_e32 v7, -1, v3
	v_cmp_gt_i32_e32 vcc_lo, 0, v3
	v_cndmask_b32_e32 v4, v7, v4, vcc_lo
	v_cndmask_b32_e32 v3, v1, v6, vcc_lo
	v_cmp_ne_u32_e32 vcc_lo, v4, v1
	v_cmp_ne_u32_e64 s0, 0, v3
	s_and_b32 s3, vcc_lo, s0
	s_and_saveexec_b32 s0, s3
	s_cbranch_execz .LBB4_242
; %bb.244:                              ;   in Loop: Header=BB4_243 Depth=1
	v_cmp_lt_i32_e32 vcc_lo, v0, v3
	s_and_b32 exec_lo, exec_lo, vcc_lo
	s_cbranch_execz .LBB4_241
; %bb.245:                              ;   in Loop: Header=BB4_243 Depth=1
	v_ashrrev_i32_e32 v1, 31, v5
	v_mov_b32_e32 v6, v26
	v_mov_b32_e32 v7, v0
	s_mov_b32 s3, 0
	s_inst_prefetch 0x1
	.p2align	6
.LBB4_246:                              ;   Parent Loop BB4_243 Depth=1
                                        ; =>  This Inner Loop Header: Depth=2
	v_ashrrev_i32_e32 v9, 31, v6
	v_add_nc_u32_e32 v8, v4, v6
	v_add_co_u32 v10, vcc_lo, v6, v5
	v_add_nc_u32_e32 v7, 0x100, v7
	v_add_co_ci_u32_e64 v11, null, v9, v1, vcc_lo
	v_ashrrev_i32_e32 v9, 31, v8
	v_add_nc_u32_e32 v6, s1, v6
	v_lshlrev_b64 v[10:11], 3, v[10:11]
	v_lshlrev_b64 v[8:9], 3, v[8:9]
	v_add_co_u32 v10, vcc_lo, s20, v10
	v_add_co_ci_u32_e64 v11, null, s33, v11, vcc_lo
	v_add_co_u32 v8, vcc_lo, s20, v8
	v_add_co_ci_u32_e64 v9, null, s33, v9, vcc_lo
	s_clause 0x1
	global_load_dwordx2 v[12:13], v[10:11], off offset:-8
	global_load_dwordx2 v[14:15], v[8:9], off
	v_cmp_ge_i32_e32 vcc_lo, v7, v3
	s_waitcnt vmcnt(1)
	global_store_dwordx2 v[8:9], v[12:13], off
	s_waitcnt vmcnt(0)
	global_store_dwordx2 v[10:11], v[14:15], off offset:-8
	s_or_b32 s3, vcc_lo, s3
	s_andn2_b32 exec_lo, exec_lo, s3
	s_cbranch_execnz .LBB4_246
	s_branch .LBB4_241
.LBB4_247:
	s_endpgm
.LBB4_248:
	v_mov_b32_e32 v5, 0
	s_and_saveexec_b32 s1, s0
	s_cbranch_execnz .LBB4_217
	s_branch .LBB4_218
	.section	.rodata,"a",@progbits
	.p2align	6, 0x0
	.amdhsa_kernel _ZN9rocsolver6v33100L18lasyf_kernel_lowerIdPdEEviiPiT0_iilS3_lS3_PT_
		.amdhsa_group_segment_fixed_size 3104
		.amdhsa_private_segment_fixed_size 0
		.amdhsa_kernarg_size 72
		.amdhsa_user_sgpr_count 6
		.amdhsa_user_sgpr_private_segment_buffer 1
		.amdhsa_user_sgpr_dispatch_ptr 0
		.amdhsa_user_sgpr_queue_ptr 0
		.amdhsa_user_sgpr_kernarg_segment_ptr 1
		.amdhsa_user_sgpr_dispatch_id 0
		.amdhsa_user_sgpr_flat_scratch_init 0
		.amdhsa_user_sgpr_private_segment_size 0
		.amdhsa_wavefront_size32 1
		.amdhsa_uses_dynamic_stack 0
		.amdhsa_system_sgpr_private_segment_wavefront_offset 0
		.amdhsa_system_sgpr_workgroup_id_x 1
		.amdhsa_system_sgpr_workgroup_id_y 1
		.amdhsa_system_sgpr_workgroup_id_z 0
		.amdhsa_system_sgpr_workgroup_info 0
		.amdhsa_system_vgpr_workitem_id 0
		.amdhsa_next_free_vgpr 49
		.amdhsa_next_free_sgpr 60
		.amdhsa_reserve_vcc 1
		.amdhsa_reserve_flat_scratch 0
		.amdhsa_float_round_mode_32 0
		.amdhsa_float_round_mode_16_64 0
		.amdhsa_float_denorm_mode_32 3
		.amdhsa_float_denorm_mode_16_64 3
		.amdhsa_dx10_clamp 1
		.amdhsa_ieee_mode 1
		.amdhsa_fp16_overflow 0
		.amdhsa_workgroup_processor_mode 1
		.amdhsa_memory_ordered 1
		.amdhsa_forward_progress 1
		.amdhsa_shared_vgpr_count 0
		.amdhsa_exception_fp_ieee_invalid_op 0
		.amdhsa_exception_fp_denorm_src 0
		.amdhsa_exception_fp_ieee_div_zero 0
		.amdhsa_exception_fp_ieee_overflow 0
		.amdhsa_exception_fp_ieee_underflow 0
		.amdhsa_exception_fp_ieee_inexact 0
		.amdhsa_exception_int_div_zero 0
	.end_amdhsa_kernel
	.section	.text._ZN9rocsolver6v33100L18lasyf_kernel_lowerIdPdEEviiPiT0_iilS3_lS3_PT_,"axG",@progbits,_ZN9rocsolver6v33100L18lasyf_kernel_lowerIdPdEEviiPiT0_iilS3_lS3_PT_,comdat
.Lfunc_end4:
	.size	_ZN9rocsolver6v33100L18lasyf_kernel_lowerIdPdEEviiPiT0_iilS3_lS3_PT_, .Lfunc_end4-_ZN9rocsolver6v33100L18lasyf_kernel_lowerIdPdEEviiPiT0_iilS3_lS3_PT_
                                        ; -- End function
	.set _ZN9rocsolver6v33100L18lasyf_kernel_lowerIdPdEEviiPiT0_iilS3_lS3_PT_.num_vgpr, 49
	.set _ZN9rocsolver6v33100L18lasyf_kernel_lowerIdPdEEviiPiT0_iilS3_lS3_PT_.num_agpr, 0
	.set _ZN9rocsolver6v33100L18lasyf_kernel_lowerIdPdEEviiPiT0_iilS3_lS3_PT_.numbered_sgpr, 60
	.set _ZN9rocsolver6v33100L18lasyf_kernel_lowerIdPdEEviiPiT0_iilS3_lS3_PT_.num_named_barrier, 0
	.set _ZN9rocsolver6v33100L18lasyf_kernel_lowerIdPdEEviiPiT0_iilS3_lS3_PT_.private_seg_size, 0
	.set _ZN9rocsolver6v33100L18lasyf_kernel_lowerIdPdEEviiPiT0_iilS3_lS3_PT_.uses_vcc, 1
	.set _ZN9rocsolver6v33100L18lasyf_kernel_lowerIdPdEEviiPiT0_iilS3_lS3_PT_.uses_flat_scratch, 0
	.set _ZN9rocsolver6v33100L18lasyf_kernel_lowerIdPdEEviiPiT0_iilS3_lS3_PT_.has_dyn_sized_stack, 0
	.set _ZN9rocsolver6v33100L18lasyf_kernel_lowerIdPdEEviiPiT0_iilS3_lS3_PT_.has_recursion, 0
	.set _ZN9rocsolver6v33100L18lasyf_kernel_lowerIdPdEEviiPiT0_iilS3_lS3_PT_.has_indirect_call, 0
	.section	.AMDGPU.csdata,"",@progbits
; Kernel info:
; codeLenInByte = 10924
; TotalNumSgprs: 62
; NumVgprs: 49
; ScratchSize: 0
; MemoryBound: 0
; FloatMode: 240
; IeeeMode: 1
; LDSByteSize: 3104 bytes/workgroup (compile time only)
; SGPRBlocks: 0
; VGPRBlocks: 6
; NumSGPRsForWavesPerEU: 62
; NumVGPRsForWavesPerEU: 49
; Occupancy: 16
; WaveLimiterHint : 1
; COMPUTE_PGM_RSRC2:SCRATCH_EN: 0
; COMPUTE_PGM_RSRC2:USER_SGPR: 6
; COMPUTE_PGM_RSRC2:TRAP_HANDLER: 0
; COMPUTE_PGM_RSRC2:TGID_X_EN: 1
; COMPUTE_PGM_RSRC2:TGID_Y_EN: 1
; COMPUTE_PGM_RSRC2:TGID_Z_EN: 0
; COMPUTE_PGM_RSRC2:TIDIG_COMP_CNT: 0
	.section	.text._ZN9rocsolver6v33100L18lasyf_kernel_upperI19rocblas_complex_numIfEPS3_EEviiPiT0_iilS5_lS5_PT_,"axG",@progbits,_ZN9rocsolver6v33100L18lasyf_kernel_upperI19rocblas_complex_numIfEPS3_EEviiPiT0_iilS5_lS5_PT_,comdat
	.globl	_ZN9rocsolver6v33100L18lasyf_kernel_upperI19rocblas_complex_numIfEPS3_EEviiPiT0_iilS5_lS5_PT_ ; -- Begin function _ZN9rocsolver6v33100L18lasyf_kernel_upperI19rocblas_complex_numIfEPS3_EEviiPiT0_iilS5_lS5_PT_
	.p2align	8
	.type	_ZN9rocsolver6v33100L18lasyf_kernel_upperI19rocblas_complex_numIfEPS3_EEviiPiT0_iilS5_lS5_PT_,@function
_ZN9rocsolver6v33100L18lasyf_kernel_upperI19rocblas_complex_numIfEPS3_EEviiPiT0_iilS5_lS5_PT_: ; @_ZN9rocsolver6v33100L18lasyf_kernel_upperI19rocblas_complex_numIfEPS3_EEviiPiT0_iilS5_lS5_PT_
; %bb.0:
	v_cmp_eq_u32_e64 s0, 0, v0
	s_mov_b32 s26, s7
	s_and_saveexec_b32 s1, s0
; %bb.1:
	v_mov_b32_e32 v1, 0
	ds_write_b32 v1, v1 offset:2052
; %bb.2:
	s_or_b32 exec_lo, exec_lo, s1
	s_clause 0x4
	s_load_dwordx2 s[20:21], s[4:5], 0x18
	s_load_dwordx8 s[8:15], s[4:5], 0x20
	s_load_dwordx2 s[22:23], s[4:5], 0x0
	s_load_dwordx4 s[16:19], s[4:5], 0x8
	s_load_dwordx2 s[24:25], s[4:5], 0x40
	s_ashr_i32 s27, s26, 31
	v_lshlrev_b32_e32 v12, 3, v0
	v_add_nc_u32_e32 v11, 1, v0
	s_waitcnt lgkmcnt(0)
	s_ashr_i32 s3, s20, 31
	s_mul_hi_u32 s1, s8, s26
	s_mul_i32 s5, s8, s27
	s_mul_i32 s6, s9, s26
	s_add_i32 s1, s1, s5
	s_mul_i32 s4, s8, s26
	s_add_i32 s5, s1, s6
	s_mov_b32 s2, s20
	s_lshl_b64 s[8:9], s[4:5], 3
	s_mul_hi_u32 s1, s12, s26
	s_add_u32 s5, s18, s8
	s_addc_u32 s6, s19, s9
	s_lshl_b64 s[28:29], s[2:3], 3
	s_mul_i32 s4, s12, s27
	s_add_u32 s20, s5, s28
	s_mul_i32 s3, s13, s26
	s_addc_u32 s33, s6, s29
	s_add_i32 s1, s1, s4
	s_mul_i32 s7, s22, s26
	s_mul_i32 s2, s12, s26
	s_add_i32 s3, s1, s3
	s_mul_i32 s12, s7, s23
	s_lshl_b64 s[2:3], s[2:3], 2
	s_ashr_i32 s13, s12, 31
	s_add_u32 s40, s10, s2
	s_addc_u32 s41, s11, s3
	s_add_i32 s42, s22, -1
	s_mov_b32 s1, s23
	s_cmp_lt_i32 s42, 0
	s_mov_b32 s10, s42
	s_cbranch_scc1 .LBB5_237
; %bb.3:
	s_lshl_b64 s[2:3], s[12:13], 3
	s_sub_i32 s43, s23, s22
	s_add_u32 s44, s24, s2
	s_addc_u32 s45, s25, s3
	s_add_i32 s59, s23, -1
	s_sub_i32 s46, s22, s23
	s_cmp_eq_u32 s23, s22
	v_add_nc_u32_e32 v4, s23, v0
	s_cselect_b32 s6, -1, 0
	s_add_i32 s47, s21, 1
	s_lshl_b32 s48, s22, 1
	s_add_u32 s3, s8, s28
	s_addc_u32 s4, s9, s29
	s_add_u32 s49, s18, s3
	s_addc_u32 s50, s19, s4
	;; [unrolled: 2-line block ×3, first 2 shown]
	s_ashr_i32 s5, s22, 31
	s_mov_b32 s4, s22
	v_lshlrev_b32_e32 v13, 2, v0
	s_lshl_b64 s[30:31], s[4:5], 3
	s_ashr_i32 s5, s21, 31
	s_mov_b32 s4, s21
	v_subrev_nc_u32_e32 v4, s22, v4
	s_lshl_b64 s[34:35], s[4:5], 3
	v_add_co_u32 v1, s4, s44, v12
	v_add_co_ci_u32_e64 v3, null, s45, 0, s4
	v_add_co_u32 v15, s7, s49, v12
	v_add_co_u32 v17, vcc_lo, v1, 4
	v_add_co_ci_u32_e64 v18, null, 0, v3, vcc_lo
	v_add_co_u32 v19, vcc_lo, v1, 8
	v_or_b32_e32 v14, 0x400, v13
	v_cmp_gt_u32_e64 s1, 0x80, v0
	v_cmp_gt_u32_e64 s2, 64, v0
	;; [unrolled: 1-line block ×3, first 2 shown]
	v_mov_b32_e32 v2, 0
	v_add_co_ci_u32_e64 v16, null, s50, 0, s7
	v_add_co_ci_u32_e64 v20, null, 0, v3, vcc_lo
	v_add_nc_u32_e32 v21, 1, v4
	s_lshl_b32 s53, s21, 8
	s_lshl_b32 s54, s22, 8
	s_add_u32 s55, s49, 4
	s_addc_u32 s56, s50, 0
	s_mov_b32 s57, 0
	s_xor_b32 s58, s6, -1
	s_mov_b32 s10, s42
	s_branch .LBB5_6
.LBB5_4:                                ;   in Loop: Header=BB5_6 Depth=1
	s_or_b32 exec_lo, exec_lo, s36
	s_add_i32 s10, s7, s10
	s_add_i32 s59, s10, s43
	s_cmp_lt_i32 s10, 0
	s_cselect_b32 s4, -1, 0
.LBB5_5:                                ;   in Loop: Header=BB5_6 Depth=1
	s_and_b32 vcc_lo, exec_lo, s4
	s_cbranch_vccnz .LBB5_236
.LBB5_6:                                ; =>This Loop Header: Depth=1
                                        ;     Child Loop BB5_9 Depth 2
                                        ;     Child Loop BB5_17 Depth 2
                                        ;       Child Loop BB5_19 Depth 3
                                        ;     Child Loop BB5_23 Depth 2
                                        ;     Child Loop BB5_68 Depth 2
	;; [unrolled: 1-line block ×4, first 2 shown]
                                        ;       Child Loop BB5_81 Depth 3
                                        ;     Child Loop BB5_86 Depth 2
                                        ;     Child Loop BB5_130 Depth 2
	;; [unrolled: 1-line block ×9, first 2 shown]
	s_cmp_le_i32 s10, s46
	s_cselect_b32 s4, -1, 0
	s_and_b32 s4, s58, s4
	s_and_b32 vcc_lo, exec_lo, s4
	s_mov_b32 s4, -1
	s_cbranch_vccnz .LBB5_5
; %bb.7:                                ;   in Loop: Header=BB5_6 Depth=1
	v_cmp_ge_i32_e64 s5, s10, v0
	s_and_saveexec_b32 s6, s5
	s_cbranch_execz .LBB5_10
; %bb.8:                                ;   in Loop: Header=BB5_6 Depth=1
	v_mad_u64_u32 v[3:4], null, s59, s22, v[0:1]
	v_mad_u64_u32 v[5:6], null, s10, s21, v[0:1]
	v_mov_b32_e32 v1, v0
	s_mov_b32 s7, 0
	v_ashrrev_i32_e32 v4, 31, v3
	v_ashrrev_i32_e32 v6, 31, v5
	v_lshlrev_b64 v[3:4], 3, v[3:4]
	v_lshlrev_b64 v[5:6], 3, v[5:6]
	v_add_co_u32 v3, vcc_lo, s44, v3
	v_add_co_ci_u32_e64 v4, null, s45, v4, vcc_lo
	v_add_co_u32 v5, vcc_lo, s49, v5
	v_add_co_ci_u32_e64 v6, null, s50, v6, vcc_lo
	.p2align	6
.LBB5_9:                                ;   Parent Loop BB5_6 Depth=1
                                        ; =>  This Inner Loop Header: Depth=2
	global_load_dwordx2 v[7:8], v[5:6], off
	v_add_nc_u32_e32 v1, 0x100, v1
	v_add_co_u32 v5, vcc_lo, 0x800, v5
	v_add_co_ci_u32_e64 v6, null, 0, v6, vcc_lo
	v_cmp_lt_i32_e32 vcc_lo, s10, v1
	s_or_b32 s7, vcc_lo, s7
	s_waitcnt vmcnt(0)
	global_store_dwordx2 v[3:4], v[7:8], off
	v_add_co_u32 v3, s4, 0x800, v3
	v_add_co_ci_u32_e64 v4, null, 0, v4, s4
	s_andn2_b32 exec_lo, exec_lo, s7
	s_cbranch_execnz .LBB5_9
.LBB5_10:                               ;   in Loop: Header=BB5_6 Depth=1
	s_or_b32 exec_lo, exec_lo, s6
	s_cmp_ge_i32 s10, s42
	s_mov_b32 s4, -1
	s_cselect_b32 s60, -1, 0
	s_cmp_lt_i32 s10, s42
	s_waitcnt_vscnt null, 0x0
	s_barrier
	buffer_gl0_inv
                                        ; implicit-def: $sgpr36
	s_cbranch_scc1 .LBB5_12
; %bb.11:                               ;   in Loop: Header=BB5_6 Depth=1
	s_mul_i32 s36, s59, s22
	s_mov_b32 s4, 0
	s_ashr_i32 s37, s36, 31
.LBB5_12:                               ;   in Loop: Header=BB5_6 Depth=1
	s_andn2_b32 vcc_lo, exec_lo, s4
	s_cbranch_vccnz .LBB5_21
; %bb.13:                               ;   in Loop: Header=BB5_6 Depth=1
	s_mul_i32 s36, s59, s22
	s_ashr_i32 s37, s36, 31
	s_and_saveexec_b32 s61, s5
	s_cbranch_execz .LBB5_20
; %bb.14:                               ;   in Loop: Header=BB5_6 Depth=1
	s_not_b32 s4, s10
	s_add_i32 s6, s10, 1
	s_add_i32 s62, s22, s4
	;; [unrolled: 1-line block ×3, first 2 shown]
	s_mul_i32 s38, s6, s21
	s_mul_i32 s6, s4, s22
	s_lshl_b64 s[64:65], s[36:37], 3
	s_ashr_i32 s39, s38, 31
	s_ashr_i32 s7, s6, 31
	s_add_u32 s63, s44, s64
	s_addc_u32 s64, s45, s65
	s_cmp_gt_i32 s62, 0
	s_mov_b32 s11, s57
	s_cselect_b32 s65, -1, 0
	s_lshl_b64 s[6:7], s[6:7], 3
	s_lshl_b64 s[66:67], s[10:11], 3
	v_mov_b32_e32 v1, v0
	s_add_u32 s4, s6, s66
	s_addc_u32 s7, s7, s67
	s_add_u32 s6, s51, s4
	s_addc_u32 s7, s52, s7
	s_lshl_b64 s[38:39], s[38:39], 3
	s_mov_b32 s11, 0
	v_add_co_u32 v3, vcc_lo, v15, s38
	v_add_co_ci_u32_e64 v4, null, s39, v16, vcc_lo
	s_branch .LBB5_17
.LBB5_15:                               ;   in Loop: Header=BB5_17 Depth=2
	v_mov_b32_e32 v8, 0
.LBB5_16:                               ;   in Loop: Header=BB5_17 Depth=2
	v_lshlrev_b64 v[5:6], 3, v[1:2]
	v_add_nc_u32_e32 v1, 0x100, v1
	v_fma_f32 v22, 0x80000000, v7, -v8
	v_fma_f32 v8, v8, 0, -v7
	v_add_co_u32 v3, s4, 0x800, v3
	v_add_co_u32 v5, vcc_lo, s63, v5
	v_add_co_ci_u32_e64 v6, null, s64, v6, vcc_lo
	v_cmp_lt_i32_e32 vcc_lo, s10, v1
	v_add_co_ci_u32_e64 v4, null, 0, v4, s4
	global_load_dwordx2 v[9:10], v[5:6], off
	s_or_b32 s11, vcc_lo, s11
	s_waitcnt vmcnt(0)
	v_fmamk_f32 v7, v10, 0x80000000, v9
	v_fmac_f32_e32 v10, 0, v9
	v_add_f32_e32 v7, v22, v7
	v_add_f32_e32 v8, v8, v10
	global_store_dwordx2 v[5:6], v[7:8], off
	s_andn2_b32 exec_lo, exec_lo, s11
	s_cbranch_execz .LBB5_20
.LBB5_17:                               ;   Parent Loop BB5_6 Depth=1
                                        ; =>  This Loop Header: Depth=2
                                        ;       Child Loop BB5_19 Depth 3
	v_mov_b32_e32 v7, 0
	s_andn2_b32 vcc_lo, exec_lo, s65
	s_cbranch_vccnz .LBB5_15
; %bb.18:                               ;   in Loop: Header=BB5_17 Depth=2
	v_mov_b32_e32 v6, v4
	v_mov_b32_e32 v5, v3
	;; [unrolled: 1-line block ×3, first 2 shown]
	s_mov_b64 s[38:39], s[6:7]
	s_mov_b32 s4, s62
	.p2align	6
.LBB5_19:                               ;   Parent Loop BB5_6 Depth=1
                                        ;     Parent Loop BB5_17 Depth=2
                                        ; =>    This Inner Loop Header: Depth=3
	global_load_dwordx2 v[9:10], v[5:6], off
	global_load_dwordx2 v[22:23], v2, s[38:39] offset:-4
	v_add_co_u32 v5, vcc_lo, v5, s34
	s_add_i32 s4, s4, -1
	v_add_co_ci_u32_e64 v6, null, s35, v6, vcc_lo
	s_add_u32 s38, s38, s30
	s_addc_u32 s39, s39, s31
	s_cmp_eq_u32 s4, 0
	s_waitcnt vmcnt(0)
	v_mul_f32_e32 v24, v23, v10
	v_mul_f32_e32 v10, v22, v10
	v_fma_f32 v22, v22, v9, -v24
	v_fmac_f32_e32 v10, v23, v9
	v_add_f32_e32 v8, v8, v22
	v_add_f32_e32 v7, v7, v10
	s_cbranch_scc0 .LBB5_19
	s_branch .LBB5_16
.LBB5_20:                               ;   in Loop: Header=BB5_6 Depth=1
	s_or_b32 exec_lo, exec_lo, s61
	s_waitcnt_vscnt null, 0x0
	s_barrier
	buffer_gl0_inv
.LBB5_21:                               ;   in Loop: Header=BB5_6 Depth=1
	v_cmp_gt_i32_e64 s4, s10, v0
	v_bfrev_b32_e32 v1, -2
	v_mov_b32_e32 v5, 0
	s_and_saveexec_b32 s11, s4
	s_cbranch_execz .LBB5_25
; %bb.22:                               ;   in Loop: Header=BB5_6 Depth=1
	s_lshl_b64 s[6:7], s[36:37], 3
	v_bfrev_b32_e32 v1, -2
	v_add_co_u32 v3, vcc_lo, v17, s6
	v_add_co_ci_u32_e64 v4, null, s7, v18, vcc_lo
	v_mov_b32_e32 v5, 0
	v_mov_b32_e32 v6, v0
	s_mov_b32 s37, 0
	.p2align	6
.LBB5_23:                               ;   Parent Loop BB5_6 Depth=1
                                        ; =>  This Inner Loop Header: Depth=2
	global_load_dwordx2 v[7:8], v[3:4], off offset:-4
	v_add_co_u32 v3, s7, 0x800, v3
	v_add_co_ci_u32_e64 v4, null, 0, v4, s7
	s_waitcnt vmcnt(0)
	v_cmp_gt_f32_e32 vcc_lo, 0, v7
	v_cndmask_b32_e64 v7, v7, -v7, vcc_lo
	v_cmp_gt_f32_e32 vcc_lo, 0, v8
	v_cndmask_b32_e64 v8, v8, -v8, vcc_lo
	v_cmp_eq_u32_e32 vcc_lo, 0x7fffffff, v1
	v_add_f32_e32 v7, v7, v8
	v_add_nc_u32_e32 v8, 1, v6
	v_add_nc_u32_e32 v6, 0x100, v6
	v_cmp_lt_f32_e64 s6, v5, v7
	v_cmp_le_i32_e64 s7, s10, v6
	s_or_b32 vcc_lo, s6, vcc_lo
	v_cndmask_b32_e32 v1, v1, v8, vcc_lo
	v_cndmask_b32_e32 v5, v5, v7, vcc_lo
	s_or_b32 s37, s7, s37
	s_andn2_b32 exec_lo, exec_lo, s37
	s_cbranch_execnz .LBB5_23
; %bb.24:                               ;   in Loop: Header=BB5_6 Depth=1
	s_or_b32 exec_lo, exec_lo, s37
.LBB5_25:                               ;   in Loop: Header=BB5_6 Depth=1
	s_or_b32 exec_lo, exec_lo, s11
	s_cmp_lt_i32 s10, 2
	ds_write_b32 v14, v5
	ds_write_b32 v13, v1
	s_waitcnt lgkmcnt(0)
	s_barrier
	buffer_gl0_inv
	s_cbranch_scc1 .LBB5_62
; %bb.26:                               ;   in Loop: Header=BB5_6 Depth=1
	s_and_saveexec_b32 s7, s1
	s_cbranch_execz .LBB5_32
; %bb.27:                               ;   in Loop: Header=BB5_6 Depth=1
	ds_read_b32 v3, v14 offset:512
	ds_read_b32 v4, v13 offset:512
	s_mov_b32 s37, exec_lo
	s_waitcnt lgkmcnt(1)
	v_cmp_lt_f32_e64 s11, v5, v3
	v_cmpx_nlt_f32_e32 v5, v3
	s_cbranch_execz .LBB5_29
; %bb.28:                               ;   in Loop: Header=BB5_6 Depth=1
	v_cmp_eq_f32_e32 vcc_lo, v5, v3
	s_waitcnt lgkmcnt(0)
	v_cmp_gt_i32_e64 s6, v1, v4
	s_andn2_b32 s11, s11, exec_lo
	s_and_b32 s6, vcc_lo, s6
	s_and_b32 s6, s6, exec_lo
	s_or_b32 s11, s11, s6
.LBB5_29:                               ;   in Loop: Header=BB5_6 Depth=1
	s_or_b32 exec_lo, exec_lo, s37
	s_and_saveexec_b32 s6, s11
	s_cbranch_execz .LBB5_31
; %bb.30:                               ;   in Loop: Header=BB5_6 Depth=1
	v_mov_b32_e32 v5, v3
	s_waitcnt lgkmcnt(0)
	v_mov_b32_e32 v1, v4
	ds_write_b32 v14, v3
	ds_write_b32 v13, v4
.LBB5_31:                               ;   in Loop: Header=BB5_6 Depth=1
	s_or_b32 exec_lo, exec_lo, s6
.LBB5_32:                               ;   in Loop: Header=BB5_6 Depth=1
	s_or_b32 exec_lo, exec_lo, s7
	s_waitcnt lgkmcnt(0)
	s_barrier
	buffer_gl0_inv
	s_and_saveexec_b32 s7, s2
	s_cbranch_execz .LBB5_38
; %bb.33:                               ;   in Loop: Header=BB5_6 Depth=1
	ds_read_b32 v3, v14 offset:256
	ds_read_b32 v4, v13 offset:256
	s_mov_b32 s37, exec_lo
	s_waitcnt lgkmcnt(1)
	v_cmp_lt_f32_e64 s11, v5, v3
	v_cmpx_nlt_f32_e32 v5, v3
	s_cbranch_execz .LBB5_35
; %bb.34:                               ;   in Loop: Header=BB5_6 Depth=1
	v_cmp_eq_f32_e32 vcc_lo, v5, v3
	s_waitcnt lgkmcnt(0)
	v_cmp_gt_i32_e64 s6, v1, v4
	s_andn2_b32 s11, s11, exec_lo
	s_and_b32 s6, vcc_lo, s6
	s_and_b32 s6, s6, exec_lo
	s_or_b32 s11, s11, s6
.LBB5_35:                               ;   in Loop: Header=BB5_6 Depth=1
	s_or_b32 exec_lo, exec_lo, s37
	s_and_saveexec_b32 s6, s11
	s_cbranch_execz .LBB5_37
; %bb.36:                               ;   in Loop: Header=BB5_6 Depth=1
	v_mov_b32_e32 v5, v3
	s_waitcnt lgkmcnt(0)
	v_mov_b32_e32 v1, v4
	ds_write_b32 v14, v3
	ds_write_b32 v13, v4
.LBB5_37:                               ;   in Loop: Header=BB5_6 Depth=1
	s_or_b32 exec_lo, exec_lo, s6
.LBB5_38:                               ;   in Loop: Header=BB5_6 Depth=1
	s_or_b32 exec_lo, exec_lo, s7
	s_waitcnt lgkmcnt(0)
	s_barrier
	buffer_gl0_inv
	s_and_saveexec_b32 s11, s3
	s_cbranch_execz .LBB5_61
; %bb.39:                               ;   in Loop: Header=BB5_6 Depth=1
	ds_read_b32 v3, v14 offset:128
	ds_read_b32 v4, v13 offset:128
	s_mov_b32 s37, exec_lo
	s_waitcnt lgkmcnt(1)
	v_cmp_lt_f32_e64 s7, v5, v3
	v_cmpx_nlt_f32_e32 v5, v3
	s_cbranch_execz .LBB5_41
; %bb.40:                               ;   in Loop: Header=BB5_6 Depth=1
	v_cmp_eq_f32_e32 vcc_lo, v5, v3
	s_waitcnt lgkmcnt(0)
	v_cmp_gt_i32_e64 s6, v1, v4
	s_andn2_b32 s7, s7, exec_lo
	s_and_b32 s6, vcc_lo, s6
	s_and_b32 s6, s6, exec_lo
	s_or_b32 s7, s7, s6
.LBB5_41:                               ;   in Loop: Header=BB5_6 Depth=1
	s_or_b32 exec_lo, exec_lo, s37
	s_and_saveexec_b32 s6, s7
	s_cbranch_execz .LBB5_43
; %bb.42:                               ;   in Loop: Header=BB5_6 Depth=1
	s_waitcnt lgkmcnt(0)
	v_mov_b32_e32 v1, v4
	v_mov_b32_e32 v5, v3
	ds_write_b32 v14, v3
	ds_write_b32 v13, v4
.LBB5_43:                               ;   in Loop: Header=BB5_6 Depth=1
	s_or_b32 exec_lo, exec_lo, s6
	ds_read_b32 v3, v14 offset:64
	s_waitcnt lgkmcnt(1)
	ds_read_b32 v4, v13 offset:64
	s_mov_b32 s37, exec_lo
	s_waitcnt lgkmcnt(1)
	v_cmp_lt_f32_e64 s7, v5, v3
	v_cmpx_nlt_f32_e32 v5, v3
	s_cbranch_execz .LBB5_45
; %bb.44:                               ;   in Loop: Header=BB5_6 Depth=1
	v_cmp_eq_f32_e32 vcc_lo, v5, v3
	s_waitcnt lgkmcnt(0)
	v_cmp_gt_i32_e64 s6, v1, v4
	s_andn2_b32 s7, s7, exec_lo
	s_and_b32 s6, vcc_lo, s6
	s_and_b32 s6, s6, exec_lo
	s_or_b32 s7, s7, s6
.LBB5_45:                               ;   in Loop: Header=BB5_6 Depth=1
	s_or_b32 exec_lo, exec_lo, s37
	s_and_saveexec_b32 s6, s7
	s_cbranch_execz .LBB5_47
; %bb.46:                               ;   in Loop: Header=BB5_6 Depth=1
	s_waitcnt lgkmcnt(0)
	v_mov_b32_e32 v1, v4
	v_mov_b32_e32 v5, v3
	ds_write_b32 v14, v3
	ds_write_b32 v13, v4
.LBB5_47:                               ;   in Loop: Header=BB5_6 Depth=1
	s_or_b32 exec_lo, exec_lo, s6
	ds_read_b32 v3, v14 offset:32
	s_waitcnt lgkmcnt(1)
	;; [unrolled: 28-line block ×5, first 2 shown]
	ds_read_b32 v4, v13 offset:4
	s_waitcnt lgkmcnt(1)
	v_cmp_eq_f32_e32 vcc_lo, v5, v3
	s_waitcnt lgkmcnt(0)
	v_cmp_gt_i32_e64 s6, v1, v4
	v_cmp_lt_f32_e64 s7, v5, v3
	s_and_b32 s6, vcc_lo, s6
	s_or_b32 s6, s7, s6
	s_and_b32 exec_lo, exec_lo, s6
	s_cbranch_execz .LBB5_61
; %bb.60:                               ;   in Loop: Header=BB5_6 Depth=1
	ds_write_b32 v14, v3
	ds_write_b32 v13, v4
.LBB5_61:                               ;   in Loop: Header=BB5_6 Depth=1
	s_or_b32 exec_lo, exec_lo, s11
.LBB5_62:                               ;   in Loop: Header=BB5_6 Depth=1
	s_and_saveexec_b32 s6, s0
	s_cbranch_execz .LBB5_64
; %bb.63:                               ;   in Loop: Header=BB5_6 Depth=1
	s_add_i32 s38, s36, s10
	ds_read2st64_b32 v[5:6], v2 offset1:4
	s_ashr_i32 s39, s38, 31
	s_lshl_b64 s[38:39], s[38:39], 3
	s_add_u32 s38, s44, s38
	s_addc_u32 s39, s45, s39
	global_load_dwordx2 v[3:4], v2, s[38:39]
	s_waitcnt vmcnt(0)
	v_cmp_gt_f32_e32 vcc_lo, 0, v3
	v_cndmask_b32_e64 v1, v3, -v3, vcc_lo
	v_cmp_gt_f32_e32 vcc_lo, 0, v4
	v_cndmask_b32_e64 v3, v4, -v4, vcc_lo
	s_waitcnt lgkmcnt(0)
	v_add_nc_u32_e32 v4, -1, v5
	v_add_f32_e32 v5, v1, v3
	ds_write_b32 v2, v4 offset:2048
	ds_write_b64 v2, v[5:6] offset:2056
.LBB5_64:                               ;   in Loop: Header=BB5_6 Depth=1
	s_or_b32 exec_lo, exec_lo, s6
	s_waitcnt lgkmcnt(0)
	s_barrier
	buffer_gl0_inv
	ds_read_b64 v[3:4], v2 offset:2056
	s_waitcnt lgkmcnt(0)
	v_cmp_lt_f32_e32 vcc_lo, v3, v4
	v_cndmask_b32_e32 v1, v3, v4, vcc_lo
	v_cmp_neq_f32_e32 vcc_lo, 0, v1
	s_cbranch_vccz .LBB5_82
; %bb.65:                               ;   in Loop: Header=BB5_6 Depth=1
	v_mul_f32_e32 v1, 0x3f23f07b, v4
	v_cmp_ge_f32_e32 vcc_lo, v3, v1
	s_cbranch_vccnz .LBB5_178
; %bb.66:                               ;   in Loop: Header=BB5_6 Depth=1
	ds_read_b32 v1, v2 offset:2048
	s_mov_b32 s7, exec_lo
	s_waitcnt lgkmcnt(0)
	v_cmpx_le_i32_e64 v0, v1
	s_cbranch_execz .LBB5_69
; %bb.67:                               ;   in Loop: Header=BB5_6 Depth=1
	v_mad_u64_u32 v[3:4], null, v1, s21, v[0:1]
	s_add_i32 s6, s59, -1
	v_mov_b32_e32 v7, v0
	v_mad_u64_u32 v[5:6], null, s6, s22, v[0:1]
	s_mov_b32 s11, 0
	v_ashrrev_i32_e32 v4, 31, v3
	v_ashrrev_i32_e32 v6, 31, v5
	v_lshlrev_b64 v[3:4], 3, v[3:4]
	v_lshlrev_b64 v[5:6], 3, v[5:6]
	v_add_co_u32 v3, vcc_lo, s49, v3
	v_add_co_ci_u32_e64 v4, null, s50, v4, vcc_lo
	v_add_co_u32 v5, vcc_lo, s44, v5
	v_add_co_ci_u32_e64 v6, null, s45, v6, vcc_lo
	.p2align	6
.LBB5_68:                               ;   Parent Loop BB5_6 Depth=1
                                        ; =>  This Inner Loop Header: Depth=2
	global_load_dwordx2 v[8:9], v[3:4], off
	v_add_nc_u32_e32 v7, 0x100, v7
	v_add_co_u32 v3, vcc_lo, 0x800, v3
	v_add_co_ci_u32_e64 v4, null, 0, v4, vcc_lo
	v_cmp_gt_i32_e32 vcc_lo, v7, v1
	s_or_b32 s11, vcc_lo, s11
	s_waitcnt vmcnt(0)
	global_store_dwordx2 v[5:6], v[8:9], off
	v_add_co_u32 v5, s6, 0x800, v5
	v_add_co_ci_u32_e64 v6, null, 0, v6, s6
	s_andn2_b32 exec_lo, exec_lo, s11
	s_cbranch_execnz .LBB5_68
.LBB5_69:                               ;   in Loop: Header=BB5_6 Depth=1
	s_or_b32 exec_lo, exec_lo, s7
	v_sub_nc_u32_e32 v5, s10, v1
	s_mov_b32 s7, exec_lo
	v_cmpx_lt_i32_e64 v0, v5
	s_cbranch_execz .LBB5_72
; %bb.70:                               ;   in Loop: Header=BB5_6 Depth=1
	s_add_i32 s6, s59, -1
	v_add_nc_u32_e32 v3, v11, v1
	s_mul_i32 s6, s6, s22
	s_mov_b32 s11, 0
	v_add_nc_u32_e32 v6, s6, v1
	v_mad_u64_u32 v[3:4], null, s21, v3, v[1:2]
	v_add_nc_u32_e32 v1, 1, v6
	v_mov_b32_e32 v6, v0
	.p2align	6
.LBB5_71:                               ;   Parent Loop BB5_6 Depth=1
                                        ; =>  This Inner Loop Header: Depth=2
	v_ashrrev_i32_e32 v4, 31, v3
	v_add_nc_u32_e32 v9, v1, v6
	v_add_nc_u32_e32 v6, 0x100, v6
	v_lshlrev_b64 v[7:8], 3, v[3:4]
	v_ashrrev_i32_e32 v10, 31, v9
	v_add_nc_u32_e32 v3, s53, v3
	v_lshlrev_b64 v[9:10], 3, v[9:10]
	v_add_co_u32 v7, vcc_lo, s20, v7
	v_add_co_ci_u32_e64 v8, null, s33, v8, vcc_lo
	v_cmp_ge_i32_e32 vcc_lo, v6, v5
	v_add_co_u32 v9, s6, s44, v9
	global_load_dwordx2 v[7:8], v[7:8], off
	v_add_co_ci_u32_e64 v10, null, s45, v10, s6
	s_or_b32 s11, vcc_lo, s11
	s_waitcnt vmcnt(0)
	global_store_dwordx2 v[9:10], v[7:8], off
	s_andn2_b32 exec_lo, exec_lo, s11
	s_cbranch_execnz .LBB5_71
.LBB5_72:                               ;   in Loop: Header=BB5_6 Depth=1
	s_or_b32 exec_lo, exec_lo, s7
	s_andn2_b32 vcc_lo, exec_lo, s60
	s_mov_b32 s6, -1
	s_waitcnt_vscnt null, 0x0
	s_barrier
	buffer_gl0_inv
                                        ; implicit-def: $sgpr38
	s_cbranch_vccnz .LBB5_74
; %bb.73:                               ;   in Loop: Header=BB5_6 Depth=1
	s_add_i32 s6, s59, -1
	s_mul_i32 s38, s6, s22
	s_mov_b32 s6, 0
	s_ashr_i32 s39, s38, 31
.LBB5_74:                               ;   in Loop: Header=BB5_6 Depth=1
	s_andn2_b32 vcc_lo, exec_lo, s6
	s_cbranch_vccnz .LBB5_84
; %bb.75:                               ;   in Loop: Header=BB5_6 Depth=1
	s_add_i32 s6, s59, 1
	s_mul_i32 s6, s6, s22
	s_sub_i32 s38, s6, s48
	s_ashr_i32 s39, s38, 31
	s_and_saveexec_b32 s11, s5
	s_cbranch_execz .LBB5_83
; %bb.76:                               ;   in Loop: Header=BB5_6 Depth=1
	ds_read_b32 v3, v2 offset:2048
	s_add_i32 s62, s10, 1
	s_not_b32 s37, s10
	s_mul_i32 s64, s62, s21
	s_lshl_b64 s[60:61], s[38:39], 3
	s_ashr_i32 s7, s6, 31
	s_add_i32 s37, s22, s37
	s_ashr_i32 s65, s64, 31
	s_add_u32 s60, s44, s60
	s_addc_u32 s61, s45, s61
	s_cmp_gt_i32 s37, 0
	s_cselect_b32 s62, -1, 0
	s_lshl_b64 s[6:7], s[6:7], 3
	s_lshl_b64 s[64:65], s[64:65], 3
	s_waitcnt lgkmcnt(0)
	v_ashrrev_i32_e32 v4, 31, v3
	v_lshlrev_b64 v[3:4], 3, v[3:4]
	v_add_co_u32 v1, vcc_lo, v3, s6
	v_add_co_ci_u32_e64 v6, null, s7, v4, vcc_lo
	v_add_co_u32 v3, vcc_lo, v15, s64
	v_add_co_ci_u32_e64 v4, null, s65, v16, vcc_lo
	;; [unrolled: 2-line block ×3, first 2 shown]
	v_mov_b32_e32 v1, v0
	s_mov_b32 s7, 0
	s_branch .LBB5_79
.LBB5_77:                               ;   in Loop: Header=BB5_79 Depth=2
	v_mov_b32_e32 v23, 0
.LBB5_78:                               ;   in Loop: Header=BB5_79 Depth=2
	v_lshlrev_b64 v[7:8], 3, v[1:2]
	v_add_nc_u32_e32 v1, 0x100, v1
	v_fma_f32 v24, 0x80000000, v22, -v23
	v_fma_f32 v22, v23, 0, -v22
	v_add_co_u32 v3, s6, 0x800, v3
	v_add_co_u32 v7, vcc_lo, s60, v7
	v_add_co_ci_u32_e64 v8, null, s61, v8, vcc_lo
	v_cmp_lt_i32_e32 vcc_lo, s10, v1
	v_add_co_ci_u32_e64 v4, null, 0, v4, s6
	global_load_dwordx2 v[9:10], v[7:8], off
	s_or_b32 s7, vcc_lo, s7
	s_waitcnt vmcnt(0)
	v_fmamk_f32 v23, v10, 0x80000000, v9
	v_fmac_f32_e32 v10, 0, v9
	v_add_f32_e32 v9, v24, v23
	v_add_f32_e32 v10, v22, v10
	global_store_dwordx2 v[7:8], v[9:10], off
	s_andn2_b32 exec_lo, exec_lo, s7
	s_cbranch_execz .LBB5_83
.LBB5_79:                               ;   Parent Loop BB5_6 Depth=1
                                        ; =>  This Loop Header: Depth=2
                                        ;       Child Loop BB5_81 Depth 3
	v_mov_b32_e32 v22, 0
	s_andn2_b32 vcc_lo, exec_lo, s62
	s_cbranch_vccnz .LBB5_77
; %bb.80:                               ;   in Loop: Header=BB5_79 Depth=2
	v_mov_b32_e32 v8, v4
	v_mov_b32_e32 v10, v6
	;; [unrolled: 1-line block ×5, first 2 shown]
	s_mov_b32 s6, s37
	.p2align	6
.LBB5_81:                               ;   Parent Loop BB5_6 Depth=1
                                        ;     Parent Loop BB5_79 Depth=2
                                        ; =>    This Inner Loop Header: Depth=3
	global_load_dwordx2 v[24:25], v[7:8], off
	global_load_dwordx2 v[26:27], v[9:10], off offset:-4
	v_add_co_u32 v9, vcc_lo, v9, s30
	v_add_co_ci_u32_e64 v10, null, s31, v10, vcc_lo
	v_add_co_u32 v7, vcc_lo, v7, s34
	v_add_co_ci_u32_e64 v8, null, s35, v8, vcc_lo
	s_add_i32 s6, s6, -1
	s_cmp_eq_u32 s6, 0
	s_waitcnt vmcnt(0)
	v_mul_f32_e32 v28, v27, v25
	v_mul_f32_e32 v25, v26, v25
	v_fma_f32 v26, v26, v24, -v28
	v_fmac_f32_e32 v25, v27, v24
	v_add_f32_e32 v23, v23, v26
	v_add_f32_e32 v22, v22, v25
	s_cbranch_scc0 .LBB5_81
	s_branch .LBB5_78
.LBB5_82:                               ;   in Loop: Header=BB5_6 Depth=1
	s_mov_b32 s5, -1
                                        ; implicit-def: $sgpr6
                                        ; implicit-def: $sgpr7
                                        ; implicit-def: $sgpr37
	s_branch .LBB5_227
.LBB5_83:                               ;   in Loop: Header=BB5_6 Depth=1
	s_or_b32 exec_lo, exec_lo, s11
	s_waitcnt_vscnt null, 0x0
	s_barrier
	buffer_gl0_inv
.LBB5_84:                               ;   in Loop: Header=BB5_6 Depth=1
	ds_read_b32 v3, v2 offset:2048
	v_bfrev_b32_e32 v1, -2
	v_mov_b32_e32 v5, 0
	s_mov_b32 s11, exec_lo
	s_waitcnt lgkmcnt(0)
	v_sub_nc_u32_e32 v6, s10, v3
	v_cmpx_lt_i32_e64 v0, v6
	s_cbranch_execz .LBB5_88
; %bb.85:                               ;   in Loop: Header=BB5_6 Depth=1
	v_ashrrev_i32_e32 v4, 31, v3
	s_lshl_b64 s[6:7], s[38:39], 3
	v_bfrev_b32_e32 v1, -2
	v_mov_b32_e32 v5, 0
	v_mov_b32_e32 v7, v0
	v_lshlrev_b64 v[3:4], 3, v[3:4]
	s_mov_b32 s37, 0
	v_add_co_u32 v3, vcc_lo, s6, v3
	v_add_co_ci_u32_e64 v4, null, s7, v4, vcc_lo
	v_add_co_u32 v3, vcc_lo, v19, v3
	v_add_co_ci_u32_e64 v4, null, v20, v4, vcc_lo
	.p2align	6
.LBB5_86:                               ;   Parent Loop BB5_6 Depth=1
                                        ; =>  This Inner Loop Header: Depth=2
	global_load_dwordx2 v[8:9], v[3:4], off
	v_add_co_u32 v3, s7, 0x800, v3
	v_add_co_ci_u32_e64 v4, null, 0, v4, s7
	s_waitcnt vmcnt(0)
	v_cmp_gt_f32_e32 vcc_lo, 0, v8
	v_cndmask_b32_e64 v8, v8, -v8, vcc_lo
	v_cmp_gt_f32_e32 vcc_lo, 0, v9
	v_cndmask_b32_e64 v9, v9, -v9, vcc_lo
	v_cmp_eq_u32_e32 vcc_lo, 0x7fffffff, v1
	v_add_f32_e32 v8, v8, v9
	v_add_nc_u32_e32 v9, 1, v7
	v_add_nc_u32_e32 v7, 0x100, v7
	v_cmp_lt_f32_e64 s6, v5, v8
	v_cmp_ge_i32_e64 s7, v7, v6
	s_or_b32 vcc_lo, s6, vcc_lo
	v_cndmask_b32_e32 v1, v1, v9, vcc_lo
	v_cndmask_b32_e32 v5, v5, v8, vcc_lo
	s_or_b32 s37, s7, s37
	s_andn2_b32 exec_lo, exec_lo, s37
	s_cbranch_execnz .LBB5_86
; %bb.87:                               ;   in Loop: Header=BB5_6 Depth=1
	s_or_b32 exec_lo, exec_lo, s37
.LBB5_88:                               ;   in Loop: Header=BB5_6 Depth=1
	s_or_b32 exec_lo, exec_lo, s11
	v_cmp_gt_i32_e32 vcc_lo, 2, v6
	ds_write_b32 v14, v5
	ds_write_b32 v13, v1
	s_waitcnt lgkmcnt(0)
	s_barrier
	buffer_gl0_inv
	s_cbranch_vccnz .LBB5_125
; %bb.89:                               ;   in Loop: Header=BB5_6 Depth=1
	s_and_saveexec_b32 s7, s1
	s_cbranch_execz .LBB5_95
; %bb.90:                               ;   in Loop: Header=BB5_6 Depth=1
	ds_read_b32 v3, v14 offset:512
	ds_read_b32 v4, v13 offset:512
	s_mov_b32 s37, exec_lo
	s_waitcnt lgkmcnt(1)
	v_cmp_lt_f32_e64 s11, v5, v3
	v_cmpx_nlt_f32_e32 v5, v3
	s_cbranch_execz .LBB5_92
; %bb.91:                               ;   in Loop: Header=BB5_6 Depth=1
	v_cmp_eq_f32_e32 vcc_lo, v5, v3
	s_waitcnt lgkmcnt(0)
	v_cmp_gt_i32_e64 s6, v1, v4
	s_andn2_b32 s11, s11, exec_lo
	s_and_b32 s6, vcc_lo, s6
	s_and_b32 s6, s6, exec_lo
	s_or_b32 s11, s11, s6
.LBB5_92:                               ;   in Loop: Header=BB5_6 Depth=1
	s_or_b32 exec_lo, exec_lo, s37
	s_and_saveexec_b32 s6, s11
	s_cbranch_execz .LBB5_94
; %bb.93:                               ;   in Loop: Header=BB5_6 Depth=1
	v_mov_b32_e32 v5, v3
	s_waitcnt lgkmcnt(0)
	v_mov_b32_e32 v1, v4
	ds_write_b32 v14, v3
	ds_write_b32 v13, v4
.LBB5_94:                               ;   in Loop: Header=BB5_6 Depth=1
	s_or_b32 exec_lo, exec_lo, s6
.LBB5_95:                               ;   in Loop: Header=BB5_6 Depth=1
	s_or_b32 exec_lo, exec_lo, s7
	s_waitcnt lgkmcnt(0)
	s_barrier
	buffer_gl0_inv
	s_and_saveexec_b32 s7, s2
	s_cbranch_execz .LBB5_101
; %bb.96:                               ;   in Loop: Header=BB5_6 Depth=1
	ds_read_b32 v3, v14 offset:256
	ds_read_b32 v4, v13 offset:256
	s_mov_b32 s37, exec_lo
	s_waitcnt lgkmcnt(1)
	v_cmp_lt_f32_e64 s11, v5, v3
	v_cmpx_nlt_f32_e32 v5, v3
	s_cbranch_execz .LBB5_98
; %bb.97:                               ;   in Loop: Header=BB5_6 Depth=1
	v_cmp_eq_f32_e32 vcc_lo, v5, v3
	s_waitcnt lgkmcnt(0)
	v_cmp_gt_i32_e64 s6, v1, v4
	s_andn2_b32 s11, s11, exec_lo
	s_and_b32 s6, vcc_lo, s6
	s_and_b32 s6, s6, exec_lo
	s_or_b32 s11, s11, s6
.LBB5_98:                               ;   in Loop: Header=BB5_6 Depth=1
	s_or_b32 exec_lo, exec_lo, s37
	s_and_saveexec_b32 s6, s11
	s_cbranch_execz .LBB5_100
; %bb.99:                               ;   in Loop: Header=BB5_6 Depth=1
	v_mov_b32_e32 v5, v3
	s_waitcnt lgkmcnt(0)
	v_mov_b32_e32 v1, v4
	ds_write_b32 v14, v3
	ds_write_b32 v13, v4
.LBB5_100:                              ;   in Loop: Header=BB5_6 Depth=1
	s_or_b32 exec_lo, exec_lo, s6
.LBB5_101:                              ;   in Loop: Header=BB5_6 Depth=1
	s_or_b32 exec_lo, exec_lo, s7
	s_waitcnt lgkmcnt(0)
	s_barrier
	buffer_gl0_inv
	s_and_saveexec_b32 s11, s3
	s_cbranch_execz .LBB5_124
; %bb.102:                              ;   in Loop: Header=BB5_6 Depth=1
	ds_read_b32 v3, v14 offset:128
	ds_read_b32 v4, v13 offset:128
	s_mov_b32 s37, exec_lo
	s_waitcnt lgkmcnt(1)
	v_cmp_lt_f32_e64 s7, v5, v3
	v_cmpx_nlt_f32_e32 v5, v3
	s_cbranch_execz .LBB5_104
; %bb.103:                              ;   in Loop: Header=BB5_6 Depth=1
	v_cmp_eq_f32_e32 vcc_lo, v5, v3
	s_waitcnt lgkmcnt(0)
	v_cmp_gt_i32_e64 s6, v1, v4
	s_andn2_b32 s7, s7, exec_lo
	s_and_b32 s6, vcc_lo, s6
	s_and_b32 s6, s6, exec_lo
	s_or_b32 s7, s7, s6
.LBB5_104:                              ;   in Loop: Header=BB5_6 Depth=1
	s_or_b32 exec_lo, exec_lo, s37
	s_and_saveexec_b32 s6, s7
	s_cbranch_execz .LBB5_106
; %bb.105:                              ;   in Loop: Header=BB5_6 Depth=1
	s_waitcnt lgkmcnt(0)
	v_mov_b32_e32 v1, v4
	v_mov_b32_e32 v5, v3
	ds_write_b32 v14, v3
	ds_write_b32 v13, v4
.LBB5_106:                              ;   in Loop: Header=BB5_6 Depth=1
	s_or_b32 exec_lo, exec_lo, s6
	ds_read_b32 v3, v14 offset:64
	s_waitcnt lgkmcnt(1)
	ds_read_b32 v4, v13 offset:64
	s_mov_b32 s37, exec_lo
	s_waitcnt lgkmcnt(1)
	v_cmp_lt_f32_e64 s7, v5, v3
	v_cmpx_nlt_f32_e32 v5, v3
	s_cbranch_execz .LBB5_108
; %bb.107:                              ;   in Loop: Header=BB5_6 Depth=1
	v_cmp_eq_f32_e32 vcc_lo, v5, v3
	s_waitcnt lgkmcnt(0)
	v_cmp_gt_i32_e64 s6, v1, v4
	s_andn2_b32 s7, s7, exec_lo
	s_and_b32 s6, vcc_lo, s6
	s_and_b32 s6, s6, exec_lo
	s_or_b32 s7, s7, s6
.LBB5_108:                              ;   in Loop: Header=BB5_6 Depth=1
	s_or_b32 exec_lo, exec_lo, s37
	s_and_saveexec_b32 s6, s7
	s_cbranch_execz .LBB5_110
; %bb.109:                              ;   in Loop: Header=BB5_6 Depth=1
	s_waitcnt lgkmcnt(0)
	v_mov_b32_e32 v1, v4
	v_mov_b32_e32 v5, v3
	ds_write_b32 v14, v3
	ds_write_b32 v13, v4
.LBB5_110:                              ;   in Loop: Header=BB5_6 Depth=1
	s_or_b32 exec_lo, exec_lo, s6
	ds_read_b32 v3, v14 offset:32
	s_waitcnt lgkmcnt(1)
	;; [unrolled: 28-line block ×5, first 2 shown]
	ds_read_b32 v4, v13 offset:4
	s_waitcnt lgkmcnt(1)
	v_cmp_eq_f32_e32 vcc_lo, v5, v3
	s_waitcnt lgkmcnt(0)
	v_cmp_gt_i32_e64 s6, v1, v4
	v_cmp_lt_f32_e64 s7, v5, v3
	s_and_b32 s6, vcc_lo, s6
	s_or_b32 s6, s7, s6
	s_and_b32 exec_lo, exec_lo, s6
	s_cbranch_execz .LBB5_124
; %bb.123:                              ;   in Loop: Header=BB5_6 Depth=1
	ds_write_b32 v14, v3
	ds_write_b32 v13, v4
.LBB5_124:                              ;   in Loop: Header=BB5_6 Depth=1
	s_or_b32 exec_lo, exec_lo, s11
.LBB5_125:                              ;   in Loop: Header=BB5_6 Depth=1
	s_and_saveexec_b32 s6, s0
	s_cbranch_execz .LBB5_127
; %bb.126:                              ;   in Loop: Header=BB5_6 Depth=1
	ds_read_b32 v1, v2 offset:1024
	s_waitcnt lgkmcnt(0)
	ds_write_b32 v2, v1 offset:2064
.LBB5_127:                              ;   in Loop: Header=BB5_6 Depth=1
	s_or_b32 exec_lo, exec_lo, s6
	ds_read_b32 v6, v2 offset:2048
	s_waitcnt lgkmcnt(0)
	v_cmp_gt_i32_e32 vcc_lo, 1, v6
	s_cbranch_vccnz .LBB5_172
; %bb.128:                              ;   in Loop: Header=BB5_6 Depth=1
	v_bfrev_b32_e32 v1, -2
	v_mov_b32_e32 v5, 0
	s_mov_b32 s11, exec_lo
	v_cmpx_lt_i32_e64 v0, v6
	s_cbranch_execz .LBB5_132
; %bb.129:                              ;   in Loop: Header=BB5_6 Depth=1
	s_lshl_b64 s[6:7], s[38:39], 3
	v_bfrev_b32_e32 v1, -2
	v_add_co_u32 v3, vcc_lo, v17, s6
	v_add_co_ci_u32_e64 v4, null, s7, v18, vcc_lo
	v_mov_b32_e32 v5, 0
	v_mov_b32_e32 v7, v0
	s_mov_b32 s37, 0
	.p2align	6
.LBB5_130:                              ;   Parent Loop BB5_6 Depth=1
                                        ; =>  This Inner Loop Header: Depth=2
	global_load_dwordx2 v[8:9], v[3:4], off offset:-4
	v_add_co_u32 v3, s7, 0x800, v3
	v_add_co_ci_u32_e64 v4, null, 0, v4, s7
	s_waitcnt vmcnt(0)
	v_cmp_gt_f32_e32 vcc_lo, 0, v8
	v_cndmask_b32_e64 v8, v8, -v8, vcc_lo
	v_cmp_gt_f32_e32 vcc_lo, 0, v9
	v_cndmask_b32_e64 v9, v9, -v9, vcc_lo
	v_cmp_eq_u32_e32 vcc_lo, 0x7fffffff, v1
	v_add_f32_e32 v8, v8, v9
	v_add_nc_u32_e32 v9, 1, v7
	v_add_nc_u32_e32 v7, 0x100, v7
	v_cmp_lt_f32_e64 s6, v5, v8
	v_cmp_ge_i32_e64 s7, v7, v6
	s_or_b32 vcc_lo, s6, vcc_lo
	v_cndmask_b32_e32 v1, v1, v9, vcc_lo
	v_cndmask_b32_e32 v5, v5, v8, vcc_lo
	s_or_b32 s37, s7, s37
	s_andn2_b32 exec_lo, exec_lo, s37
	s_cbranch_execnz .LBB5_130
; %bb.131:                              ;   in Loop: Header=BB5_6 Depth=1
	s_or_b32 exec_lo, exec_lo, s37
.LBB5_132:                              ;   in Loop: Header=BB5_6 Depth=1
	s_or_b32 exec_lo, exec_lo, s11
	v_cmp_eq_u32_e32 vcc_lo, 1, v6
	ds_write_b32 v14, v5
	ds_write_b32 v13, v1
	s_waitcnt lgkmcnt(0)
	s_barrier
	buffer_gl0_inv
	s_cbranch_vccnz .LBB5_169
; %bb.133:                              ;   in Loop: Header=BB5_6 Depth=1
	s_and_saveexec_b32 s7, s1
	s_cbranch_execz .LBB5_139
; %bb.134:                              ;   in Loop: Header=BB5_6 Depth=1
	ds_read_b32 v3, v14 offset:512
	ds_read_b32 v4, v13 offset:512
	s_mov_b32 s37, exec_lo
	s_waitcnt lgkmcnt(1)
	v_cmp_lt_f32_e64 s11, v5, v3
	v_cmpx_nlt_f32_e32 v5, v3
	s_cbranch_execz .LBB5_136
; %bb.135:                              ;   in Loop: Header=BB5_6 Depth=1
	v_cmp_eq_f32_e32 vcc_lo, v5, v3
	s_waitcnt lgkmcnt(0)
	v_cmp_gt_i32_e64 s6, v1, v4
	s_andn2_b32 s11, s11, exec_lo
	s_and_b32 s6, vcc_lo, s6
	s_and_b32 s6, s6, exec_lo
	s_or_b32 s11, s11, s6
.LBB5_136:                              ;   in Loop: Header=BB5_6 Depth=1
	s_or_b32 exec_lo, exec_lo, s37
	s_and_saveexec_b32 s6, s11
	s_cbranch_execz .LBB5_138
; %bb.137:                              ;   in Loop: Header=BB5_6 Depth=1
	v_mov_b32_e32 v5, v3
	s_waitcnt lgkmcnt(0)
	v_mov_b32_e32 v1, v4
	ds_write_b32 v14, v3
	ds_write_b32 v13, v4
.LBB5_138:                              ;   in Loop: Header=BB5_6 Depth=1
	s_or_b32 exec_lo, exec_lo, s6
.LBB5_139:                              ;   in Loop: Header=BB5_6 Depth=1
	s_or_b32 exec_lo, exec_lo, s7
	s_waitcnt lgkmcnt(0)
	s_barrier
	buffer_gl0_inv
	s_and_saveexec_b32 s7, s2
	s_cbranch_execz .LBB5_145
; %bb.140:                              ;   in Loop: Header=BB5_6 Depth=1
	ds_read_b32 v3, v14 offset:256
	ds_read_b32 v4, v13 offset:256
	s_mov_b32 s37, exec_lo
	s_waitcnt lgkmcnt(1)
	v_cmp_lt_f32_e64 s11, v5, v3
	v_cmpx_nlt_f32_e32 v5, v3
	s_cbranch_execz .LBB5_142
; %bb.141:                              ;   in Loop: Header=BB5_6 Depth=1
	v_cmp_eq_f32_e32 vcc_lo, v5, v3
	s_waitcnt lgkmcnt(0)
	v_cmp_gt_i32_e64 s6, v1, v4
	s_andn2_b32 s11, s11, exec_lo
	s_and_b32 s6, vcc_lo, s6
	s_and_b32 s6, s6, exec_lo
	s_or_b32 s11, s11, s6
.LBB5_142:                              ;   in Loop: Header=BB5_6 Depth=1
	s_or_b32 exec_lo, exec_lo, s37
	s_and_saveexec_b32 s6, s11
	s_cbranch_execz .LBB5_144
; %bb.143:                              ;   in Loop: Header=BB5_6 Depth=1
	v_mov_b32_e32 v5, v3
	s_waitcnt lgkmcnt(0)
	v_mov_b32_e32 v1, v4
	ds_write_b32 v14, v3
	ds_write_b32 v13, v4
.LBB5_144:                              ;   in Loop: Header=BB5_6 Depth=1
	s_or_b32 exec_lo, exec_lo, s6
.LBB5_145:                              ;   in Loop: Header=BB5_6 Depth=1
	s_or_b32 exec_lo, exec_lo, s7
	s_waitcnt lgkmcnt(0)
	s_barrier
	buffer_gl0_inv
	s_and_saveexec_b32 s11, s3
	s_cbranch_execz .LBB5_168
; %bb.146:                              ;   in Loop: Header=BB5_6 Depth=1
	ds_read_b32 v3, v14 offset:128
	ds_read_b32 v4, v13 offset:128
	s_mov_b32 s37, exec_lo
	s_waitcnt lgkmcnt(1)
	v_cmp_lt_f32_e64 s7, v5, v3
	v_cmpx_nlt_f32_e32 v5, v3
	s_cbranch_execz .LBB5_148
; %bb.147:                              ;   in Loop: Header=BB5_6 Depth=1
	v_cmp_eq_f32_e32 vcc_lo, v5, v3
	s_waitcnt lgkmcnt(0)
	v_cmp_gt_i32_e64 s6, v1, v4
	s_andn2_b32 s7, s7, exec_lo
	s_and_b32 s6, vcc_lo, s6
	s_and_b32 s6, s6, exec_lo
	s_or_b32 s7, s7, s6
.LBB5_148:                              ;   in Loop: Header=BB5_6 Depth=1
	s_or_b32 exec_lo, exec_lo, s37
	s_and_saveexec_b32 s6, s7
	s_cbranch_execz .LBB5_150
; %bb.149:                              ;   in Loop: Header=BB5_6 Depth=1
	s_waitcnt lgkmcnt(0)
	v_mov_b32_e32 v1, v4
	v_mov_b32_e32 v5, v3
	ds_write_b32 v14, v3
	ds_write_b32 v13, v4
.LBB5_150:                              ;   in Loop: Header=BB5_6 Depth=1
	s_or_b32 exec_lo, exec_lo, s6
	ds_read_b32 v3, v14 offset:64
	s_waitcnt lgkmcnt(1)
	ds_read_b32 v4, v13 offset:64
	s_mov_b32 s37, exec_lo
	s_waitcnt lgkmcnt(1)
	v_cmp_lt_f32_e64 s7, v5, v3
	v_cmpx_nlt_f32_e32 v5, v3
	s_cbranch_execz .LBB5_152
; %bb.151:                              ;   in Loop: Header=BB5_6 Depth=1
	v_cmp_eq_f32_e32 vcc_lo, v5, v3
	s_waitcnt lgkmcnt(0)
	v_cmp_gt_i32_e64 s6, v1, v4
	s_andn2_b32 s7, s7, exec_lo
	s_and_b32 s6, vcc_lo, s6
	s_and_b32 s6, s6, exec_lo
	s_or_b32 s7, s7, s6
.LBB5_152:                              ;   in Loop: Header=BB5_6 Depth=1
	s_or_b32 exec_lo, exec_lo, s37
	s_and_saveexec_b32 s6, s7
	s_cbranch_execz .LBB5_154
; %bb.153:                              ;   in Loop: Header=BB5_6 Depth=1
	s_waitcnt lgkmcnt(0)
	v_mov_b32_e32 v1, v4
	v_mov_b32_e32 v5, v3
	ds_write_b32 v14, v3
	ds_write_b32 v13, v4
.LBB5_154:                              ;   in Loop: Header=BB5_6 Depth=1
	s_or_b32 exec_lo, exec_lo, s6
	ds_read_b32 v3, v14 offset:32
	s_waitcnt lgkmcnt(1)
	;; [unrolled: 28-line block ×5, first 2 shown]
	ds_read_b32 v4, v13 offset:4
	s_waitcnt lgkmcnt(1)
	v_cmp_eq_f32_e32 vcc_lo, v5, v3
	s_waitcnt lgkmcnt(0)
	v_cmp_gt_i32_e64 s6, v1, v4
	v_cmp_lt_f32_e64 s7, v5, v3
	s_and_b32 s6, vcc_lo, s6
	s_or_b32 s6, s7, s6
	s_and_b32 exec_lo, exec_lo, s6
	s_cbranch_execz .LBB5_168
; %bb.167:                              ;   in Loop: Header=BB5_6 Depth=1
	ds_write_b32 v14, v3
	ds_write_b32 v13, v4
.LBB5_168:                              ;   in Loop: Header=BB5_6 Depth=1
	s_or_b32 exec_lo, exec_lo, s11
.LBB5_169:                              ;   in Loop: Header=BB5_6 Depth=1
	s_and_saveexec_b32 s6, s0
	s_cbranch_execz .LBB5_171
; %bb.170:                              ;   in Loop: Header=BB5_6 Depth=1
	ds_read_b32 v1, v2 offset:2064
	ds_read_b32 v3, v2 offset:1024
	s_waitcnt lgkmcnt(0)
	v_cmp_lt_f32_e32 vcc_lo, v1, v3
	v_cndmask_b32_e32 v1, v1, v3, vcc_lo
	ds_write_b32 v2, v1 offset:2064
.LBB5_171:                              ;   in Loop: Header=BB5_6 Depth=1
	s_or_b32 exec_lo, exec_lo, s6
.LBB5_172:                              ;   in Loop: Header=BB5_6 Depth=1
	s_waitcnt lgkmcnt(0)
	s_barrier
	buffer_gl0_inv
	ds_read_b64 v[3:4], v2 offset:2056
	ds_read_b32 v1, v2 offset:2064
	s_waitcnt lgkmcnt(0)
	v_div_scale_f32 v5, null, v1, v1, v4
	v_rcp_f32_e32 v6, v5
	v_fma_f32 v7, -v5, v6, 1.0
	v_fmac_f32_e32 v6, v7, v6
	v_div_scale_f32 v7, vcc_lo, v4, v1, v4
	v_mul_f32_e32 v8, v7, v6
	v_fma_f32 v9, -v5, v8, v7
	v_fmac_f32_e32 v8, v9, v6
	v_fma_f32 v5, -v5, v8, v7
	v_div_fmas_f32 v5, v5, v6, v8
	v_mul_f32_e32 v6, 0x3f23f07b, v4
	v_div_fixup_f32 v4, v5, v1, v4
	v_mul_f32_e32 v4, v6, v4
	v_cmp_ge_f32_e32 vcc_lo, v3, v4
	s_cbranch_vccnz .LBB5_178
; %bb.173:                              ;   in Loop: Header=BB5_6 Depth=1
	ds_read_b32 v5, v2 offset:2048
	v_mul_f32_e32 v1, 0x3f23f07b, v1
	s_waitcnt lgkmcnt(0)
	v_readfirstlane_b32 s6, v5
	s_add_i32 s6, s6, s38
	s_ashr_i32 s7, s6, 31
	s_lshl_b64 s[6:7], s[6:7], 3
	s_add_u32 s6, s44, s6
	s_addc_u32 s7, s45, s7
	global_load_dwordx2 v[3:4], v2, s[6:7]
	v_readfirstlane_b32 s6, v5
	s_waitcnt vmcnt(0)
	v_cmp_gt_f32_e32 vcc_lo, 0, v3
	v_cndmask_b32_e64 v3, v3, -v3, vcc_lo
	v_cmp_gt_f32_e32 vcc_lo, 0, v4
	v_cndmask_b32_e64 v4, v4, -v4, vcc_lo
	v_add_f32_e32 v3, v3, v4
	v_cmp_nge_f32_e32 vcc_lo, v3, v1
	s_cbranch_vccnz .LBB5_198
; %bb.174:                              ;   in Loop: Header=BB5_6 Depth=1
	s_and_saveexec_b32 s7, s5
	s_cbranch_execz .LBB5_177
; %bb.175:                              ;   in Loop: Header=BB5_6 Depth=1
	v_add_nc_u32_e32 v3, s36, v0
	v_add_nc_u32_e32 v5, s38, v0
	v_mov_b32_e32 v1, v0
	s_mov_b32 s11, 0
	v_ashrrev_i32_e32 v4, 31, v3
	v_ashrrev_i32_e32 v6, 31, v5
	v_lshlrev_b64 v[3:4], 3, v[3:4]
	v_lshlrev_b64 v[5:6], 3, v[5:6]
	v_add_co_u32 v3, vcc_lo, s44, v3
	v_add_co_ci_u32_e64 v4, null, s45, v4, vcc_lo
	v_add_co_u32 v5, vcc_lo, s44, v5
	v_add_co_ci_u32_e64 v6, null, s45, v6, vcc_lo
	.p2align	6
.LBB5_176:                              ;   Parent Loop BB5_6 Depth=1
                                        ; =>  This Inner Loop Header: Depth=2
	global_load_dwordx2 v[7:8], v[5:6], off
	v_add_nc_u32_e32 v1, 0x100, v1
	v_add_co_u32 v5, vcc_lo, 0x800, v5
	v_add_co_ci_u32_e64 v6, null, 0, v6, vcc_lo
	v_cmp_lt_i32_e32 vcc_lo, s10, v1
	s_or_b32 s11, vcc_lo, s11
	s_waitcnt vmcnt(0)
	global_store_dwordx2 v[3:4], v[7:8], off
	v_add_co_u32 v3, s5, 0x800, v3
	v_add_co_ci_u32_e64 v4, null, 0, v4, s5
	s_andn2_b32 exec_lo, exec_lo, s11
	s_cbranch_execnz .LBB5_176
.LBB5_177:                              ;   in Loop: Header=BB5_6 Depth=1
	s_or_b32 exec_lo, exec_lo, s7
	s_mov_b32 s7, -1
	s_mov_b32 s37, -1
	s_waitcnt_vscnt null, 0x0
	s_barrier
	buffer_gl0_inv
	s_add_i32 s11, s37, s10
	s_add_i32 s38, s11, 1
	s_cmp_eq_u32 s6, s38
	s_cbranch_scc0 .LBB5_179
	s_branch .LBB5_194
.LBB5_178:                              ;   in Loop: Header=BB5_6 Depth=1
	s_mov_b32 s7, -1
	s_mov_b32 s37, -1
	s_mov_b32 s6, s10
	s_add_i32 s11, s37, s10
	s_add_i32 s38, s11, 1
	s_cmp_eq_u32 s6, s38
	s_cbranch_scc1 .LBB5_194
.LBB5_179:                              ;   in Loop: Header=BB5_6 Depth=1
	s_and_saveexec_b32 s5, s0
	s_cbranch_execz .LBB5_181
; %bb.180:                              ;   in Loop: Header=BB5_6 Depth=1
	s_mul_i32 s60, s38, s47
	s_ashr_i32 s61, s60, 31
	s_lshl_b64 s[60:61], s[60:61], 3
	s_add_u32 s60, s20, s60
	s_addc_u32 s61, s33, s61
	global_load_dwordx2 v[3:4], v2, s[60:61]
	s_mul_i32 s60, s6, s47
	s_ashr_i32 s61, s60, 31
	s_lshl_b64 s[60:61], s[60:61], 3
	s_add_u32 s60, s20, s60
	s_addc_u32 s61, s33, s61
	s_waitcnt vmcnt(0)
	global_store_dwordx2 v2, v[3:4], s[60:61]
.LBB5_181:                              ;   in Loop: Header=BB5_6 Depth=1
	s_or_b32 exec_lo, exec_lo, s5
	s_sub_i32 s39, s11, s6
	s_mov_b32 s60, exec_lo
	v_cmpx_gt_i32_e64 s39, v0
	s_cbranch_execz .LBB5_184
; %bb.182:                              ;   in Loop: Header=BB5_6 Depth=1
	v_add_nc_u32_e32 v1, s6, v11
	s_mul_i32 s5, s38, s21
	s_mov_b32 s62, 0
	s_add_i32 s61, s6, s5
	s_add_i32 s61, s61, 1
	v_mad_u64_u32 v[3:4], null, s21, v1, s[6:7]
	v_mov_b32_e32 v1, v0
	.p2align	6
.LBB5_183:                              ;   Parent Loop BB5_6 Depth=1
                                        ; =>  This Inner Loop Header: Depth=2
	v_add_nc_u32_e32 v4, s61, v1
	v_add_nc_u32_e32 v1, 0x100, v1
	v_ashrrev_i32_e32 v5, 31, v4
	v_lshlrev_b64 v[4:5], 3, v[4:5]
	v_add_co_u32 v4, vcc_lo, s20, v4
	v_add_co_ci_u32_e64 v5, null, s33, v5, vcc_lo
	v_cmp_le_i32_e32 vcc_lo, s39, v1
	global_load_dwordx2 v[5:6], v[4:5], off
	v_ashrrev_i32_e32 v4, 31, v3
	s_or_b32 s62, vcc_lo, s62
	v_lshlrev_b64 v[7:8], 3, v[3:4]
	v_add_nc_u32_e32 v3, s53, v3
	v_add_co_u32 v7, s5, s20, v7
	v_add_co_ci_u32_e64 v8, null, s33, v8, s5
	s_waitcnt vmcnt(0)
	global_store_dwordx2 v[7:8], v[5:6], off
	s_andn2_b32 exec_lo, exec_lo, s62
	s_cbranch_execnz .LBB5_183
.LBB5_184:                              ;   in Loop: Header=BB5_6 Depth=1
	s_or_b32 exec_lo, exec_lo, s60
	s_mov_b32 s39, exec_lo
	v_cmpx_gt_i32_e64 s6, v0
	s_cbranch_execz .LBB5_187
; %bb.185:                              ;   in Loop: Header=BB5_6 Depth=1
	v_mad_u64_u32 v[3:4], null, s6, s21, v[0:1]
	v_mad_u64_u32 v[5:6], null, s38, s21, v[0:1]
	v_mov_b32_e32 v1, v0
	s_mov_b32 s60, 0
	v_ashrrev_i32_e32 v4, 31, v3
	v_ashrrev_i32_e32 v6, 31, v5
	v_lshlrev_b64 v[3:4], 3, v[3:4]
	v_lshlrev_b64 v[5:6], 3, v[5:6]
	v_add_co_u32 v3, vcc_lo, s49, v3
	v_add_co_ci_u32_e64 v4, null, s50, v4, vcc_lo
	v_add_co_u32 v5, vcc_lo, s49, v5
	v_add_co_ci_u32_e64 v6, null, s50, v6, vcc_lo
	.p2align	6
.LBB5_186:                              ;   Parent Loop BB5_6 Depth=1
                                        ; =>  This Inner Loop Header: Depth=2
	global_load_dwordx2 v[7:8], v[5:6], off
	v_add_nc_u32_e32 v1, 0x100, v1
	v_add_co_u32 v5, vcc_lo, 0x800, v5
	v_add_co_ci_u32_e64 v6, null, 0, v6, vcc_lo
	v_cmp_le_i32_e32 vcc_lo, s6, v1
	s_or_b32 s60, vcc_lo, s60
	s_waitcnt vmcnt(0)
	global_store_dwordx2 v[3:4], v[7:8], off
	v_add_co_u32 v3, s5, 0x800, v3
	v_add_co_ci_u32_e64 v4, null, 0, v4, s5
	s_andn2_b32 exec_lo, exec_lo, s60
	s_cbranch_execnz .LBB5_186
.LBB5_187:                              ;   in Loop: Header=BB5_6 Depth=1
	s_or_b32 exec_lo, exec_lo, s39
	s_not_b32 s5, s10
	s_mov_b32 s39, exec_lo
	s_add_i32 s5, s22, s5
	s_waitcnt_vscnt null, 0x0
	s_barrier
	buffer_gl0_inv
	v_cmpx_gt_i32_e64 s5, v0
	s_cbranch_execz .LBB5_190
; %bb.188:                              ;   in Loop: Header=BB5_6 Depth=1
	v_add_nc_u32_e32 v1, s10, v11
	v_mov_b32_e32 v3, v0
	s_ashr_i32 s60, s11, 31
	s_mov_b32 s61, 0
	v_mul_lo_u32 v1, s21, v1
	s_inst_prefetch 0x1
	.p2align	6
.LBB5_189:                              ;   Parent Loop BB5_6 Depth=1
                                        ; =>  This Inner Loop Header: Depth=2
	v_add_nc_u32_e32 v4, s6, v1
	v_ashrrev_i32_e32 v7, 31, v1
	v_add_co_u32 v6, vcc_lo, v1, s11
	v_add_nc_u32_e32 v3, 0x100, v3
	v_ashrrev_i32_e32 v5, 31, v4
	v_add_co_ci_u32_e64 v7, null, s60, v7, vcc_lo
	v_add_nc_u32_e32 v1, s53, v1
	v_lshlrev_b64 v[4:5], 3, v[4:5]
	v_lshlrev_b64 v[6:7], 3, v[6:7]
	v_add_co_u32 v4, vcc_lo, s20, v4
	v_add_co_ci_u32_e64 v5, null, s33, v5, vcc_lo
	v_add_co_u32 v6, vcc_lo, s20, v6
	v_add_co_ci_u32_e64 v7, null, s33, v7, vcc_lo
	s_clause 0x1
	global_load_dwordx2 v[8:9], v[4:5], off
	global_load_dwordx2 v[22:23], v[6:7], off offset:8
	v_cmp_le_i32_e32 vcc_lo, s5, v3
	s_waitcnt vmcnt(1)
	global_store_dwordx2 v[6:7], v[8:9], off offset:8
	s_waitcnt vmcnt(0)
	global_store_dwordx2 v[4:5], v[22:23], off
	s_or_b32 s61, vcc_lo, s61
	s_andn2_b32 exec_lo, exec_lo, s61
	s_cbranch_execnz .LBB5_189
.LBB5_190:                              ;   in Loop: Header=BB5_6 Depth=1
	s_inst_prefetch 0x2
	s_or_b32 exec_lo, exec_lo, s39
	s_sub_i32 s5, s22, s38
	s_mov_b32 s38, exec_lo
	v_cmpx_gt_i32_e64 s5, v0
	s_cbranch_execz .LBB5_193
; %bb.191:                              ;   in Loop: Header=BB5_6 Depth=1
	v_add3_u32 v1, s10, s37, v21
	v_mov_b32_e32 v3, v0
	s_ashr_i32 s37, s11, 31
	s_mov_b32 s39, 0
	v_mul_lo_u32 v1, s22, v1
	s_inst_prefetch 0x1
	.p2align	6
.LBB5_192:                              ;   Parent Loop BB5_6 Depth=1
                                        ; =>  This Inner Loop Header: Depth=2
	v_add_nc_u32_e32 v4, s6, v1
	v_ashrrev_i32_e32 v7, 31, v1
	v_add_co_u32 v6, vcc_lo, v1, s11
	v_add_nc_u32_e32 v3, 0x100, v3
	v_ashrrev_i32_e32 v5, 31, v4
	v_add_co_ci_u32_e64 v7, null, s37, v7, vcc_lo
	v_add_nc_u32_e32 v1, s54, v1
	v_lshlrev_b64 v[4:5], 3, v[4:5]
	v_lshlrev_b64 v[6:7], 3, v[6:7]
	v_add_co_u32 v4, vcc_lo, s44, v4
	v_add_co_ci_u32_e64 v5, null, s45, v5, vcc_lo
	v_add_co_u32 v6, vcc_lo, s44, v6
	v_add_co_ci_u32_e64 v7, null, s45, v7, vcc_lo
	s_clause 0x1
	global_load_dwordx2 v[8:9], v[4:5], off
	global_load_dwordx2 v[22:23], v[6:7], off offset:8
	v_cmp_le_i32_e32 vcc_lo, s5, v3
	s_waitcnt vmcnt(1)
	global_store_dwordx2 v[6:7], v[8:9], off offset:8
	s_waitcnt vmcnt(0)
	global_store_dwordx2 v[4:5], v[22:23], off
	s_or_b32 s39, vcc_lo, s39
	s_andn2_b32 exec_lo, exec_lo, s39
	s_cbranch_execnz .LBB5_192
.LBB5_193:                              ;   in Loop: Header=BB5_6 Depth=1
	s_inst_prefetch 0x2
	s_or_b32 exec_lo, exec_lo, s38
	s_waitcnt_vscnt null, 0x0
	s_barrier
	buffer_gl0_inv
.LBB5_194:                              ;   in Loop: Header=BB5_6 Depth=1
	s_xor_b32 s5, s7, -1
	s_mov_b32 s11, -1
	s_and_b32 vcc_lo, exec_lo, s5
	s_cbranch_vccz .LBB5_216
; %bb.195:                              ;   in Loop: Header=BB5_6 Depth=1
	s_cmp_lt_i32 s10, 2
	s_cbranch_scc1 .LBB5_213
; %bb.196:                              ;   in Loop: Header=BB5_6 Depth=1
	s_ashr_i32 s5, s36, 31
	s_ashr_i32 s7, s10, 31
	s_add_u32 s38, s36, s10
	s_addc_u32 s39, s5, s7
	s_lshl_b64 s[38:39], s[38:39], 3
	s_add_u32 s38, s44, s38
	s_addc_u32 s39, s45, s39
	global_load_dwordx2 v[3:4], v2, s[38:39] offset:-8
	s_add_i32 s38, s36, s10
	s_ashr_i32 s39, s38, 31
	s_lshl_b64 s[38:39], s[38:39], 3
	s_add_u32 s38, s44, s38
	s_addc_u32 s39, s45, s39
	global_load_dwordx2 v[5:6], v2, s[38:39]
	s_waitcnt vmcnt(1)
	v_cmp_ngt_f32_e64 s11, |v3|, |v4|
	s_and_b32 vcc_lo, exec_lo, s11
	s_cbranch_vccz .LBB5_199
; %bb.197:                              ;   in Loop: Header=BB5_6 Depth=1
	v_div_scale_f32 v1, null, v4, v4, v3
	v_div_scale_f32 v9, vcc_lo, v3, v4, v3
	v_rcp_f32_e32 v7, v1
	v_fma_f32 v8, -v1, v7, 1.0
	v_fmac_f32_e32 v7, v8, v7
	v_mul_f32_e32 v8, v9, v7
	v_fma_f32 v10, -v1, v8, v9
	v_fmac_f32_e32 v8, v10, v7
	v_fma_f32 v1, -v1, v8, v9
	v_div_fmas_f32 v1, v1, v7, v8
	v_div_fixup_f32 v1, v1, v4, v3
	v_fma_f32 v7, v3, v1, v4
	v_div_scale_f32 v8, null, v7, v7, 1.0
	v_div_scale_f32 v22, vcc_lo, 1.0, v7, 1.0
	v_rcp_f32_e32 v9, v8
	v_fma_f32 v10, -v8, v9, 1.0
	v_fmac_f32_e32 v9, v10, v9
	v_mul_f32_e32 v10, v22, v9
	v_fma_f32 v23, -v8, v10, v22
	v_fmac_f32_e32 v10, v23, v9
	v_fma_f32 v8, -v8, v10, v22
	v_div_fmas_f32 v8, v8, v9, v10
	s_waitcnt vmcnt(0)
	v_fma_f32 v9, v1, v5, v6
	v_div_fixup_f32 v7, v8, v7, 1.0
	v_fma_f32 v8, v1, v6, -v5
	v_mul_f32_e32 v1, v7, v9
	v_mul_f32_e32 v9, v7, v8
	s_cbranch_execz .LBB5_200
	s_branch .LBB5_201
.LBB5_198:                              ;   in Loop: Header=BB5_6 Depth=1
	s_mov_b32 s7, 0
	s_mov_b32 s37, -2
	s_add_i32 s11, s37, s10
	s_add_i32 s38, s11, 1
	s_cmp_eq_u32 s6, s38
	s_cbranch_scc0 .LBB5_179
	s_branch .LBB5_194
.LBB5_199:                              ;   in Loop: Header=BB5_6 Depth=1
                                        ; implicit-def: $vgpr1
                                        ; implicit-def: $vgpr9
.LBB5_200:                              ;   in Loop: Header=BB5_6 Depth=1
	v_div_scale_f32 v1, null, v3, v3, v4
	v_div_scale_f32 v9, vcc_lo, v4, v3, v4
	v_rcp_f32_e32 v7, v1
	v_fma_f32 v8, -v1, v7, 1.0
	v_fmac_f32_e32 v7, v8, v7
	v_mul_f32_e32 v8, v9, v7
	v_fma_f32 v10, -v1, v8, v9
	v_fmac_f32_e32 v8, v10, v7
	v_fma_f32 v1, -v1, v8, v9
	v_div_fmas_f32 v1, v1, v7, v8
	v_div_fixup_f32 v1, v1, v3, v4
	v_fma_f32 v7, v4, v1, v3
	v_div_scale_f32 v8, null, v7, v7, 1.0
	v_div_scale_f32 v22, vcc_lo, 1.0, v7, 1.0
	v_rcp_f32_e32 v9, v8
	v_fma_f32 v10, -v8, v9, 1.0
	v_fmac_f32_e32 v9, v10, v9
	v_mul_f32_e32 v10, v22, v9
	v_fma_f32 v23, -v8, v10, v22
	v_fmac_f32_e32 v10, v23, v9
	v_fma_f32 v8, -v8, v10, v22
	v_div_fmas_f32 v8, v8, v9, v10
	s_waitcnt vmcnt(0)
	v_fma_f32 v9, v1, v6, v5
	v_fma_f32 v5, -v1, v5, v6
	v_div_fixup_f32 v7, v8, v7, 1.0
	v_mul_f32_e32 v1, v7, v9
	v_mul_f32_e32 v9, v7, v5
.LBB5_201:                              ;   in Loop: Header=BB5_6 Depth=1
	s_add_i32 s5, s59, -1
	s_mul_i32 s5, s5, s22
	s_ashr_i32 s37, s5, 31
	s_add_u32 s38, s5, s10
	s_addc_u32 s39, s37, s7
	s_lshl_b64 s[38:39], s[38:39], 3
	s_add_u32 s38, s44, s38
	s_addc_u32 s39, s45, s39
	s_and_b32 vcc_lo, exec_lo, s11
	global_load_dwordx2 v[5:6], v2, s[38:39] offset:-8
	s_cbranch_vccz .LBB5_203
; %bb.202:                              ;   in Loop: Header=BB5_6 Depth=1
	v_div_scale_f32 v7, null, v4, v4, v3
	v_div_scale_f32 v22, vcc_lo, v3, v4, v3
	v_rcp_f32_e32 v8, v7
	v_fma_f32 v10, -v7, v8, 1.0
	v_fmac_f32_e32 v8, v10, v8
	v_mul_f32_e32 v10, v22, v8
	v_fma_f32 v23, -v7, v10, v22
	v_fmac_f32_e32 v10, v23, v8
	v_fma_f32 v7, -v7, v10, v22
	v_div_fmas_f32 v7, v7, v8, v10
	v_div_fixup_f32 v7, v7, v4, v3
	v_fma_f32 v8, v3, v7, v4
	v_div_scale_f32 v10, null, v8, v8, 1.0
	v_div_scale_f32 v24, vcc_lo, 1.0, v8, 1.0
	v_rcp_f32_e32 v22, v10
	v_fma_f32 v23, -v10, v22, 1.0
	v_fmac_f32_e32 v22, v23, v22
	v_mul_f32_e32 v23, v24, v22
	v_fma_f32 v25, -v10, v23, v24
	v_fmac_f32_e32 v23, v25, v22
	v_fma_f32 v10, -v10, v23, v24
	v_div_fmas_f32 v10, v10, v22, v23
	s_waitcnt vmcnt(0)
	v_fma_f32 v22, v7, v5, v6
	v_fma_f32 v7, v7, v6, -v5
	v_div_fixup_f32 v8, v10, v8, 1.0
	v_mul_f32_e32 v10, v8, v22
	v_mul_f32_e32 v22, v8, v7
	s_cbranch_execz .LBB5_204
	s_branch .LBB5_205
.LBB5_203:                              ;   in Loop: Header=BB5_6 Depth=1
                                        ; implicit-def: $vgpr10
                                        ; implicit-def: $vgpr22
.LBB5_204:                              ;   in Loop: Header=BB5_6 Depth=1
	v_div_scale_f32 v7, null, v3, v3, v4
	v_div_scale_f32 v22, vcc_lo, v4, v3, v4
	v_rcp_f32_e32 v8, v7
	v_fma_f32 v10, -v7, v8, 1.0
	v_fmac_f32_e32 v8, v10, v8
	v_mul_f32_e32 v10, v22, v8
	v_fma_f32 v23, -v7, v10, v22
	v_fmac_f32_e32 v10, v23, v8
	v_fma_f32 v7, -v7, v10, v22
	v_div_fmas_f32 v7, v7, v8, v10
	v_div_fixup_f32 v7, v7, v3, v4
	v_fma_f32 v8, v4, v7, v3
	v_div_scale_f32 v10, null, v8, v8, 1.0
	v_div_scale_f32 v24, vcc_lo, 1.0, v8, 1.0
	v_rcp_f32_e32 v22, v10
	v_fma_f32 v23, -v10, v22, 1.0
	v_fmac_f32_e32 v22, v23, v22
	v_mul_f32_e32 v23, v24, v22
	v_fma_f32 v25, -v10, v23, v24
	v_fmac_f32_e32 v23, v25, v22
	v_fma_f32 v10, -v10, v23, v24
	v_div_fmas_f32 v10, v10, v22, v23
	s_waitcnt vmcnt(0)
	v_fma_f32 v22, v7, v6, v5
	v_fma_f32 v5, -v7, v5, v6
	v_div_fixup_f32 v8, v10, v8, 1.0
	v_mul_f32_e32 v10, v8, v22
	v_mul_f32_e32 v22, v8, v5
.LBB5_205:                              ;   in Loop: Header=BB5_6 Depth=1
	s_waitcnt vmcnt(0)
	v_mul_f32_e32 v5, v9, v22
	v_mul_f32_e32 v6, v9, v10
	v_fma_f32 v5, v1, v10, -v5
	v_fmac_f32_e32 v6, v1, v22
	v_add_f32_e32 v7, -1.0, v5
	v_mul_f32_e32 v8, v4, v6
	v_mul_f32_e32 v5, v4, v7
	v_fma_f32 v4, v3, v7, -v8
	v_fmac_f32_e32 v5, v3, v6
	v_cmp_ngt_f32_e64 s7, |v4|, |v5|
	s_and_b32 vcc_lo, exec_lo, s7
	s_cbranch_vccz .LBB5_207
; %bb.206:                              ;   in Loop: Header=BB5_6 Depth=1
	v_div_scale_f32 v3, null, v5, v5, v4
	v_div_scale_f32 v8, vcc_lo, v4, v5, v4
	v_rcp_f32_e32 v6, v3
	v_fma_f32 v7, -v3, v6, 1.0
	v_fmac_f32_e32 v6, v7, v6
	v_mul_f32_e32 v7, v8, v6
	v_fma_f32 v23, -v3, v7, v8
	v_fmac_f32_e32 v7, v23, v6
	v_fma_f32 v3, -v3, v7, v8
	v_div_fmas_f32 v3, v3, v6, v7
	v_div_fixup_f32 v3, v3, v5, v4
	v_fma_f32 v6, v4, v3, v5
	v_div_scale_f32 v7, null, v6, v6, 1.0
	v_div_scale_f32 v24, vcc_lo, 1.0, v6, 1.0
	v_rcp_f32_e32 v8, v7
	v_fma_f32 v23, -v7, v8, 1.0
	v_fmac_f32_e32 v8, v23, v8
	v_mul_f32_e32 v23, v24, v8
	v_fma_f32 v25, -v7, v23, v24
	v_fmac_f32_e32 v23, v25, v8
	v_fma_f32 v7, -v7, v23, v24
	v_div_fmas_f32 v7, v7, v8, v23
	v_add_f32_e32 v8, 0, v3
	v_fma_f32 v3, v3, 0, -1.0
	v_div_fixup_f32 v6, v7, v6, 1.0
	v_mul_f32_e32 v23, v8, v6
	v_mul_f32_e32 v24, v3, v6
	s_cbranch_execz .LBB5_208
	s_branch .LBB5_209
.LBB5_207:                              ;   in Loop: Header=BB5_6 Depth=1
                                        ; implicit-def: $vgpr23
                                        ; implicit-def: $vgpr24
.LBB5_208:                              ;   in Loop: Header=BB5_6 Depth=1
	v_div_scale_f32 v3, null, v4, v4, v5
	v_div_scale_f32 v8, vcc_lo, v5, v4, v5
	v_rcp_f32_e32 v6, v3
	v_fma_f32 v7, -v3, v6, 1.0
	v_fmac_f32_e32 v6, v7, v6
	v_mul_f32_e32 v7, v8, v6
	v_fma_f32 v23, -v3, v7, v8
	v_fmac_f32_e32 v7, v23, v6
	v_fma_f32 v3, -v3, v7, v8
	v_div_fmas_f32 v3, v3, v6, v7
	v_div_fixup_f32 v3, v3, v4, v5
	v_fmac_f32_e32 v4, v5, v3
	v_div_scale_f32 v5, null, v4, v4, 1.0
	v_div_scale_f32 v8, vcc_lo, 1.0, v4, 1.0
	v_rcp_f32_e32 v6, v5
	v_fma_f32 v7, -v5, v6, 1.0
	v_fmac_f32_e32 v6, v7, v6
	v_mul_f32_e32 v7, v8, v6
	v_fma_f32 v23, -v5, v7, v8
	v_fmac_f32_e32 v7, v23, v6
	v_fma_f32 v5, -v5, v7, v8
	v_div_fmas_f32 v5, v5, v6, v7
	v_fma_f32 v6, v3, 0, 1.0
	v_div_fixup_f32 v4, v5, v4, 1.0
	v_mul_f32_e32 v23, v6, v4
	v_mul_f32_e64 v24, -v3, v4
.LBB5_209:                              ;   in Loop: Header=BB5_6 Depth=1
	s_add_i32 s7, s10, -2
	s_mov_b32 s11, exec_lo
	v_cmpx_ge_i32_e64 s7, v0
	s_cbranch_execz .LBB5_212
; %bb.210:                              ;   in Loop: Header=BB5_6 Depth=1
	s_add_i32 s37, s10, -1
	v_add_nc_u32_e32 v3, s5, v0
	v_mad_u64_u32 v[5:6], null, s37, s21, v[0:1]
	v_add_nc_u32_e32 v7, s36, v0
	v_mov_b32_e32 v25, v0
	v_ashrrev_i32_e32 v4, 31, v3
	s_mul_i32 s37, s10, s21
	s_mov_b32 s38, 0
	v_ashrrev_i32_e32 v8, 31, v7
	v_ashrrev_i32_e32 v6, 31, v5
	v_lshlrev_b64 v[3:4], 3, v[3:4]
	v_lshlrev_b64 v[7:8], 3, v[7:8]
	;; [unrolled: 1-line block ×3, first 2 shown]
	v_add_co_u32 v3, vcc_lo, s51, v3
	v_add_co_ci_u32_e64 v4, null, s52, v4, vcc_lo
	v_add_co_u32 v5, vcc_lo, s55, v5
	v_add_co_ci_u32_e64 v6, null, s56, v6, vcc_lo
	;; [unrolled: 2-line block ×3, first 2 shown]
.LBB5_211:                              ;   Parent Loop BB5_6 Depth=1
                                        ; =>  This Inner Loop Header: Depth=2
	global_load_dwordx2 v[26:27], v[3:4], off offset:-4
	global_load_dwordx2 v[28:29], v[7:8], off offset:-4
	s_waitcnt vmcnt(1)
	v_mul_f32_e32 v30, v1, v27
	v_mul_f32_e32 v27, v9, v27
	v_fmac_f32_e32 v30, v9, v26
	v_fma_f32 v26, v1, v26, -v27
	s_waitcnt vmcnt(0)
	v_sub_f32_e32 v29, v30, v29
	v_sub_f32_e32 v26, v26, v28
	v_add_nc_u32_e32 v30, s37, v25
	v_add_nc_u32_e32 v25, 0x100, v25
	v_mul_f32_e32 v28, v24, v29
	v_mul_f32_e32 v27, v24, v26
	v_ashrrev_i32_e32 v31, 31, v30
	v_cmp_lt_i32_e32 vcc_lo, s7, v25
	v_fma_f32 v26, v23, v26, -v28
	v_fmac_f32_e32 v27, v23, v29
	v_lshlrev_b64 v[30:31], 3, v[30:31]
	s_or_b32 s38, vcc_lo, s38
	global_store_dwordx2 v[5:6], v[26:27], off offset:-4
	global_load_dwordx2 v[26:27], v[7:8], off offset:-4
	global_load_dwordx2 v[28:29], v[3:4], off offset:-4
	v_add_co_u32 v30, s5, s20, v30
	v_add_co_ci_u32_e64 v31, null, s33, v31, s5
	v_add_co_u32 v5, s5, 0x800, v5
	v_add_co_ci_u32_e64 v6, null, 0, v6, s5
	;; [unrolled: 2-line block ×4, first 2 shown]
	s_waitcnt vmcnt(1)
	v_mul_f32_e32 v32, v10, v27
	v_mul_f32_e32 v27, v22, v27
	v_fmac_f32_e32 v32, v22, v26
	v_fma_f32 v26, v10, v26, -v27
	s_waitcnt vmcnt(0)
	v_sub_f32_e32 v29, v32, v29
	v_sub_f32_e32 v26, v26, v28
	v_mul_f32_e32 v28, v24, v29
	v_mul_f32_e32 v27, v24, v26
	v_fma_f32 v26, v23, v26, -v28
	v_fmac_f32_e32 v27, v23, v29
	global_store_dwordx2 v[30:31], v[26:27], off
	s_andn2_b32 exec_lo, exec_lo, s38
	s_cbranch_execnz .LBB5_211
.LBB5_212:                              ;   in Loop: Header=BB5_6 Depth=1
	s_or_b32 exec_lo, exec_lo, s11
.LBB5_213:                              ;   in Loop: Header=BB5_6 Depth=1
	s_and_saveexec_b32 s5, s0
	s_cbranch_execz .LBB5_215
; %bb.214:                              ;   in Loop: Header=BB5_6 Depth=1
	s_add_i32 s7, s59, -1
	s_add_i32 s11, s10, -1
	s_mul_i32 s7, s7, s22
	s_ashr_i32 s59, s10, 31
	s_ashr_i32 s37, s7, 31
	s_add_u32 s38, s7, s10
	s_addc_u32 s39, s37, s59
	s_lshl_b64 s[38:39], s[38:39], 3
	s_add_u32 s38, s44, s38
	s_addc_u32 s39, s45, s39
	global_load_dwordx2 v[3:4], v2, s[38:39] offset:-8
	s_mul_i32 s38, s11, s47
	s_ashr_i32 s39, s38, 31
	s_lshl_b64 s[38:39], s[38:39], 3
	s_add_u32 s38, s20, s38
	s_addc_u32 s39, s33, s39
	s_ashr_i32 s7, s36, 31
	s_add_u32 s60, s36, s10
	s_addc_u32 s61, s7, s59
	s_mul_i32 s7, s10, s21
	s_lshl_b64 s[60:61], s[60:61], 3
	s_add_u32 s60, s44, s60
	s_addc_u32 s61, s45, s61
	s_ashr_i32 s11, s7, 31
	s_waitcnt vmcnt(0)
	global_store_dwordx2 v2, v[3:4], s[38:39]
	global_load_dwordx2 v[3:4], v2, s[60:61] offset:-8
	s_add_u32 s38, s10, s7
	s_addc_u32 s39, s59, s11
	s_lshl_b64 s[38:39], s[38:39], 3
	s_add_u32 s38, s20, s38
	s_addc_u32 s39, s33, s39
	s_add_i32 s60, s36, s10
	s_ashr_i32 s61, s60, 31
	s_lshl_b64 s[60:61], s[60:61], 3
	s_add_u32 s60, s44, s60
	s_addc_u32 s61, s45, s61
	s_waitcnt vmcnt(0)
	global_store_dwordx2 v2, v[3:4], s[38:39] offset:-8
	global_load_dwordx2 v[3:4], v2, s[60:61]
	s_add_i32 s38, s7, s10
	s_ashr_i32 s39, s38, 31
	s_lshl_b64 s[38:39], s[38:39], 3
	s_add_u32 s38, s20, s38
	s_addc_u32 s39, s33, s39
	s_waitcnt vmcnt(0)
	global_store_dwordx2 v2, v[3:4], s[38:39]
.LBB5_215:                              ;   in Loop: Header=BB5_6 Depth=1
	s_or_b32 exec_lo, exec_lo, s5
	s_mov_b32 s11, 0
	s_waitcnt_vscnt null, 0x0
	s_barrier
	buffer_gl0_inv
.LBB5_216:                              ;   in Loop: Header=BB5_6 Depth=1
	s_mov_b32 s5, 0
	s_mov_b32 s7, -2
	s_and_b32 vcc_lo, exec_lo, s11
	s_mov_b32 s37, 0
	s_cbranch_vccz .LBB5_227
; %bb.217:                              ;   in Loop: Header=BB5_6 Depth=1
	s_add_i32 s38, s36, s10
	s_ashr_i32 s39, s38, 31
	s_lshl_b64 s[38:39], s[38:39], 3
	s_add_u32 s38, s44, s38
	s_addc_u32 s39, s45, s39
	global_load_dwordx2 v[3:4], v2, s[38:39]
	s_waitcnt vmcnt(0)
	v_cmp_ngt_f32_e64 s7, |v3|, |v4|
	s_and_b32 vcc_lo, exec_lo, s7
	s_cbranch_vccz .LBB5_219
; %bb.218:                              ;   in Loop: Header=BB5_6 Depth=1
	v_div_scale_f32 v1, null, v4, v4, v3
	v_div_scale_f32 v7, vcc_lo, v3, v4, v3
	v_rcp_f32_e32 v5, v1
	v_fma_f32 v6, -v1, v5, 1.0
	v_fmac_f32_e32 v5, v6, v5
	v_mul_f32_e32 v6, v7, v5
	v_fma_f32 v8, -v1, v6, v7
	v_fmac_f32_e32 v6, v8, v5
	v_fma_f32 v1, -v1, v6, v7
	v_div_fmas_f32 v1, v1, v5, v6
	v_div_fixup_f32 v1, v1, v4, v3
	v_fma_f32 v5, v3, v1, v4
	v_div_scale_f32 v6, null, v5, v5, 1.0
	v_div_scale_f32 v9, vcc_lo, 1.0, v5, 1.0
	v_rcp_f32_e32 v7, v6
	v_fma_f32 v8, -v6, v7, 1.0
	v_fmac_f32_e32 v7, v8, v7
	v_mul_f32_e32 v8, v9, v7
	v_fma_f32 v10, -v6, v8, v9
	v_fmac_f32_e32 v8, v10, v7
	v_fma_f32 v6, -v6, v8, v9
	v_div_fmas_f32 v6, v6, v7, v8
	v_add_f32_e32 v7, 0, v1
	v_div_fixup_f32 v5, v6, v5, 1.0
	v_fma_f32 v6, v1, 0, -1.0
	v_mul_f32_e32 v1, v7, v5
	v_mul_f32_e32 v7, v6, v5
	s_cbranch_execz .LBB5_220
	s_branch .LBB5_221
.LBB5_219:                              ;   in Loop: Header=BB5_6 Depth=1
                                        ; implicit-def: $vgpr1
                                        ; implicit-def: $vgpr7
.LBB5_220:                              ;   in Loop: Header=BB5_6 Depth=1
	v_div_scale_f32 v1, null, v3, v3, v4
	v_div_scale_f32 v7, vcc_lo, v4, v3, v4
	v_rcp_f32_e32 v5, v1
	v_fma_f32 v6, -v1, v5, 1.0
	v_fmac_f32_e32 v5, v6, v5
	v_mul_f32_e32 v6, v7, v5
	v_fma_f32 v8, -v1, v6, v7
	v_fmac_f32_e32 v6, v8, v5
	v_fma_f32 v1, -v1, v6, v7
	v_div_fmas_f32 v1, v1, v5, v6
	v_div_fixup_f32 v5, v1, v3, v4
	v_fmac_f32_e32 v3, v4, v5
	v_div_scale_f32 v1, null, v3, v3, 1.0
	v_div_scale_f32 v7, vcc_lo, 1.0, v3, 1.0
	v_rcp_f32_e32 v4, v1
	v_fma_f32 v6, -v1, v4, 1.0
	v_fmac_f32_e32 v4, v6, v4
	v_mul_f32_e32 v6, v7, v4
	v_fma_f32 v8, -v1, v6, v7
	v_fmac_f32_e32 v6, v8, v4
	v_fma_f32 v1, -v1, v6, v7
	v_div_fmas_f32 v1, v1, v4, v6
	v_fma_f32 v4, v5, 0, 1.0
	v_div_fixup_f32 v3, v1, v3, 1.0
	v_mul_f32_e32 v1, v4, v3
	v_mul_f32_e64 v7, -v5, v3
.LBB5_221:                              ;   in Loop: Header=BB5_6 Depth=1
	s_and_saveexec_b32 s7, s0
	s_cbranch_execnz .LBB5_223
; %bb.222:                              ;   in Loop: Header=BB5_6 Depth=1
	s_or_b32 exec_lo, exec_lo, s7
	s_and_saveexec_b32 s7, s4
	s_cbranch_execnz .LBB5_224
	s_branch .LBB5_226
.LBB5_223:                              ;   in Loop: Header=BB5_6 Depth=1
	global_load_dwordx2 v[3:4], v2, s[38:39]
	s_mul_i32 s38, s10, s47
	s_ashr_i32 s39, s38, 31
	s_lshl_b64 s[38:39], s[38:39], 3
	s_add_u32 s38, s20, s38
	s_addc_u32 s39, s33, s39
	s_waitcnt vmcnt(0)
	global_store_dwordx2 v2, v[3:4], s[38:39]
	s_or_b32 exec_lo, exec_lo, s7
	s_and_saveexec_b32 s7, s4
	s_cbranch_execz .LBB5_226
.LBB5_224:                              ;   in Loop: Header=BB5_6 Depth=1
	v_mad_u64_u32 v[5:6], null, s10, s21, v[0:1]
	v_add_nc_u32_e32 v3, s36, v0
	v_mov_b32_e32 v8, v0
	s_mov_b32 s11, 0
	v_ashrrev_i32_e32 v4, 31, v3
	v_ashrrev_i32_e32 v6, 31, v5
	v_lshlrev_b64 v[3:4], 3, v[3:4]
	v_lshlrev_b64 v[5:6], 3, v[5:6]
	v_add_co_u32 v3, vcc_lo, s51, v3
	v_add_co_ci_u32_e64 v4, null, s52, v4, vcc_lo
	v_add_co_u32 v5, vcc_lo, s55, v5
	v_add_co_ci_u32_e64 v6, null, s56, v6, vcc_lo
	.p2align	6
.LBB5_225:                              ;   Parent Loop BB5_6 Depth=1
                                        ; =>  This Inner Loop Header: Depth=2
	global_load_dwordx2 v[9:10], v[3:4], off offset:-4
	v_add_nc_u32_e32 v8, 0x100, v8
	v_add_co_u32 v3, vcc_lo, 0x800, v3
	v_add_co_ci_u32_e64 v4, null, 0, v4, vcc_lo
	v_cmp_le_i32_e32 vcc_lo, s10, v8
	s_or_b32 s11, vcc_lo, s11
	s_waitcnt vmcnt(0)
	v_mul_f32_e32 v22, v7, v10
	v_mul_f32_e32 v23, v1, v10
	v_fma_f32 v22, v1, v9, -v22
	v_fmac_f32_e32 v23, v7, v9
	global_store_dwordx2 v[5:6], v[22:23], off offset:-4
	v_add_co_u32 v5, s4, 0x800, v5
	v_add_co_ci_u32_e64 v6, null, 0, v6, s4
	s_andn2_b32 exec_lo, exec_lo, s11
	s_cbranch_execnz .LBB5_225
.LBB5_226:                              ;   in Loop: Header=BB5_6 Depth=1
	s_or_b32 exec_lo, exec_lo, s7
	s_waitcnt_vscnt null, 0x0
	s_barrier
	s_mov_b32 s37, -1
	s_mov_b32 s7, -1
	buffer_gl0_inv
.LBB5_227:                              ;   in Loop: Header=BB5_6 Depth=1
	s_and_b32 vcc_lo, exec_lo, s5
	s_cbranch_vccz .LBB5_231
; %bb.228:                              ;   in Loop: Header=BB5_6 Depth=1
	ds_read_b32 v1, v2 offset:2052
	s_waitcnt lgkmcnt(0)
	v_readfirstlane_b32 s4, v1
	s_cmp_eq_u32 s4, 0
	s_cselect_b32 s4, -1, 0
	s_and_b32 s5, s0, s4
	s_and_saveexec_b32 s4, s5
; %bb.229:                              ;   in Loop: Header=BB5_6 Depth=1
	s_add_i32 s5, s10, 1
	v_mov_b32_e32 v1, s5
	ds_write_b32 v2, v1 offset:2052
; %bb.230:                              ;   in Loop: Header=BB5_6 Depth=1
	s_or_b32 exec_lo, exec_lo, s4
	s_mov_b32 s7, -1
	s_mov_b32 s37, -1
	s_mov_b32 s6, s10
.LBB5_231:                              ;   in Loop: Header=BB5_6 Depth=1
	s_and_saveexec_b32 s36, s0
	s_cbranch_execz .LBB5_4
; %bb.232:                              ;   in Loop: Header=BB5_6 Depth=1
	s_mov_b32 s11, s57
	s_lshl_b64 s[4:5], s[10:11], 2
	s_xor_b32 s11, s37, -1
	s_add_u32 s4, s40, s4
	s_addc_u32 s5, s41, s5
	s_and_b32 vcc_lo, exec_lo, s11
	s_mov_b32 s11, -1
	s_cbranch_vccz .LBB5_234
; %bb.233:                              ;   in Loop: Header=BB5_6 Depth=1
	s_not_b32 s11, s6
	v_mov_b32_e32 v3, s11
	v_mov_b32_e32 v4, s11
	s_mov_b32 s11, 0
	global_store_dwordx2 v2, v[3:4], s[4:5] offset:-4
.LBB5_234:                              ;   in Loop: Header=BB5_6 Depth=1
	s_andn2_b32 vcc_lo, exec_lo, s11
	s_cbranch_vccnz .LBB5_4
; %bb.235:                              ;   in Loop: Header=BB5_6 Depth=1
	s_add_i32 s6, s6, 1
	v_mov_b32_e32 v1, s6
	global_store_dword v2, v1, s[4:5]
	s_branch .LBB5_4
.LBB5_236:
	s_add_i32 s1, s59, 1
.LBB5_237:
	s_and_saveexec_b32 s2, s0
	s_cbranch_execz .LBB5_239
; %bb.238:
	v_mov_b32_e32 v1, 0
	s_lshl_b64 s[4:5], s[26:27], 2
	s_add_u32 s6, s16, s4
	s_addc_u32 s7, s17, s5
	ds_read_b32 v2, v1 offset:2052
	s_add_u32 s4, s14, s4
	s_addc_u32 s5, s15, s5
	s_not_b32 s0, s10
	s_add_i32 s0, s22, s0
	v_mov_b32_e32 v3, s0
	global_store_dword v1, v3, s[6:7]
	s_waitcnt lgkmcnt(0)
	global_store_dword v1, v2, s[4:5]
.LBB5_239:
	s_or_b32 exec_lo, exec_lo, s2
	s_abs_i32 s0, s23
	s_abs_i32 s4, s10
	v_cvt_f32_u32_e32 v1, s0
	s_sub_i32 s3, 0, s0
	s_mov_b32 s5, 0
	v_rcp_iflag_f32_e32 v1, v1
	v_mul_f32_e32 v1, 0x4f7ffffe, v1
	v_cvt_u32_f32_e32 v1, v1
	v_readfirstlane_b32 s2, v1
	s_mul_i32 s3, s3, s2
	s_mul_hi_u32 s3, s2, s3
	s_add_i32 s2, s2, s3
	s_ashr_i32 s3, s10, 31
	s_mul_hi_u32 s2, s4, s2
	s_mul_i32 s2, s2, s0
	s_sub_i32 s2, s4, s2
	s_sub_i32 s4, s2, s0
	s_cmp_ge_u32 s2, s0
	s_cselect_b32 s2, s4, s2
	s_sub_i32 s4, s2, s0
	s_cmp_ge_u32 s2, s0
	s_cselect_b32 s0, s4, s2
	s_add_i32 s2, s10, 1
	s_xor_b32 s0, s0, s3
	s_sub_i32 s0, s3, s0
	s_add_i32 s4, s10, s0
	s_cmp_lt_i32 s4, 0
	s_cbranch_scc1 .LBB5_259
; %bb.240:
	s_not_b32 s3, s10
	s_mul_i32 s0, s2, s21
	s_mul_i32 s6, s1, s22
	s_add_i32 s3, s22, s3
	s_ashr_i32 s1, s0, 31
	s_ashr_i32 s7, s6, 31
	s_cmp_gt_i32 s3, 0
	v_mov_b32_e32 v2, 0
	s_cselect_b32 s14, -1, 0
	s_lshl_b64 s[0:1], s[0:1], 3
	s_add_u32 s15, s20, s0
	s_addc_u32 s16, s33, s1
	s_lshl_b64 s[10:11], s[12:13], 3
	s_lshl_b64 s[6:7], s[6:7], 3
	s_add_u32 s6, s10, s6
	s_addc_u32 s7, s11, s7
	s_add_u32 s6, s24, s6
	s_addc_u32 s7, s25, s7
	s_add_u32 s17, s6, 4
	s_addc_u32 s24, s7, 0
	s_ashr_i32 s7, s22, 31
	s_mov_b32 s6, s22
	s_lshl_b64 s[6:7], s[6:7], 3
	s_add_u32 s8, s8, s28
	s_addc_u32 s9, s9, s29
	s_add_u32 s0, s8, s0
	s_addc_u32 s1, s9, s1
	;; [unrolled: 2-line block ×3, first 2 shown]
	v_add_co_u32 v9, s0, s0, v12
	v_add_co_ci_u32_e64 v10, null, s1, 0, s0
	s_ashr_i32 s1, s21, 31
	s_mov_b32 s0, s21
	s_lshl_b64 s[8:9], s[0:1], 3
	s_branch .LBB5_242
.LBB5_241:                              ;   in Loop: Header=BB5_242 Depth=1
	s_or_b32 exec_lo, exec_lo, s1
	s_sub_i32 s4, s4, s23
	s_cmp_gt_i32 s4, -1
	s_cbranch_scc0 .LBB5_259
.LBB5_242:                              ; =>This Loop Header: Depth=1
                                        ;     Child Loop BB5_245 Depth 2
                                        ;       Child Loop BB5_249 Depth 3
                                        ;         Child Loop BB5_251 Depth 4
                                        ;     Child Loop BB5_256 Depth 2
                                        ;       Child Loop BB5_258 Depth 3
	s_lshl_b64 s[0:1], s[4:5], 3
	s_add_u32 s10, s17, s0
	s_addc_u32 s11, s24, s1
	s_sub_i32 s12, s2, s4
	s_min_i32 s18, s12, s23
	s_cmp_lt_i32 s18, 1
	s_cbranch_scc1 .LBB5_252
; %bb.243:                              ;   in Loop: Header=BB5_242 Depth=1
	v_add_co_u32 v3, vcc_lo, v9, s0
	v_add_co_ci_u32_e64 v4, null, s1, v10, vcc_lo
	s_add_i32 s19, s18, s4
	s_add_u32 s25, s20, s0
	s_addc_u32 s26, s33, s1
	s_mov_b64 s[12:13], s[10:11]
	s_mov_b32 s27, s4
	s_branch .LBB5_245
.LBB5_244:                              ;   in Loop: Header=BB5_245 Depth=2
	s_or_b32 exec_lo, exec_lo, s29
	s_add_i32 s27, s27, 1
	s_add_u32 s12, s12, 8
	s_addc_u32 s13, s13, 0
	s_cmp_lt_i32 s27, s19
	s_cbranch_scc0 .LBB5_252
.LBB5_245:                              ;   Parent Loop BB5_242 Depth=1
                                        ; =>  This Loop Header: Depth=2
                                        ;       Child Loop BB5_249 Depth 3
                                        ;         Child Loop BB5_251 Depth 4
	s_sub_i32 s28, s27, s4
	s_mov_b32 s29, exec_lo
	v_cmpx_ge_i32_e64 s28, v0
	s_cbranch_execz .LBB5_244
; %bb.246:                              ;   in Loop: Header=BB5_245 Depth=2
	s_mul_i32 s0, s27, s21
	v_mov_b32_e32 v6, v4
	s_ashr_i32 s1, s0, 31
	v_mov_b32_e32 v5, v3
	s_lshl_b64 s[0:1], s[0:1], 3
	v_mov_b32_e32 v1, v0
	s_add_u32 s30, s25, s0
	s_addc_u32 s31, s26, s1
	s_mov_b32 s34, 0
	s_branch .LBB5_249
.LBB5_247:                              ;   in Loop: Header=BB5_249 Depth=3
	v_mov_b32_e32 v13, 0
.LBB5_248:                              ;   in Loop: Header=BB5_249 Depth=3
	v_lshlrev_b64 v[7:8], 3, v[1:2]
	v_add_nc_u32_e32 v1, 0x100, v1
	v_fma_f32 v16, 0x80000000, v12, -v13
	v_fma_f32 v13, v13, 0, -v12
	v_add_co_u32 v5, s0, 0x800, v5
	v_add_co_u32 v7, vcc_lo, s30, v7
	v_add_co_ci_u32_e64 v8, null, s31, v8, vcc_lo
	v_cmp_lt_i32_e32 vcc_lo, s28, v1
	v_add_co_ci_u32_e64 v6, null, 0, v6, s0
	global_load_dwordx2 v[14:15], v[7:8], off
	s_or_b32 s34, vcc_lo, s34
	s_waitcnt vmcnt(0)
	v_fmamk_f32 v12, v15, 0x80000000, v14
	v_fmac_f32_e32 v15, 0, v14
	v_add_f32_e32 v12, v16, v12
	v_add_f32_e32 v13, v13, v15
	global_store_dwordx2 v[7:8], v[12:13], off
	s_andn2_b32 exec_lo, exec_lo, s34
	s_cbranch_execz .LBB5_244
.LBB5_249:                              ;   Parent Loop BB5_242 Depth=1
                                        ;     Parent Loop BB5_245 Depth=2
                                        ; =>    This Loop Header: Depth=3
                                        ;         Child Loop BB5_251 Depth 4
	v_mov_b32_e32 v12, 0
	s_andn2_b32 vcc_lo, exec_lo, s14
	s_cbranch_vccnz .LBB5_247
; %bb.250:                              ;   in Loop: Header=BB5_249 Depth=3
	v_mov_b32_e32 v8, v6
	v_mov_b32_e32 v7, v5
	;; [unrolled: 1-line block ×3, first 2 shown]
	s_mov_b64 s[0:1], s[12:13]
	s_mov_b32 s35, s3
	.p2align	6
.LBB5_251:                              ;   Parent Loop BB5_242 Depth=1
                                        ;     Parent Loop BB5_245 Depth=2
                                        ;       Parent Loop BB5_249 Depth=3
                                        ; =>      This Inner Loop Header: Depth=4
	global_load_dwordx2 v[14:15], v[7:8], off
	global_load_dwordx2 v[16:17], v2, s[0:1] offset:-4
	v_add_co_u32 v7, vcc_lo, v7, s8
	s_add_i32 s35, s35, -1
	v_add_co_ci_u32_e64 v8, null, s9, v8, vcc_lo
	s_add_u32 s0, s0, s6
	s_addc_u32 s1, s1, s7
	s_cmp_eq_u32 s35, 0
	s_waitcnt vmcnt(0)
	v_mul_f32_e32 v18, v17, v15
	v_mul_f32_e32 v15, v16, v15
	v_fma_f32 v16, v16, v14, -v18
	v_fmac_f32_e32 v15, v17, v14
	v_add_f32_e32 v13, v13, v16
	v_add_f32_e32 v12, v12, v15
	s_cbranch_scc0 .LBB5_251
	s_branch .LBB5_248
.LBB5_252:                              ;   in Loop: Header=BB5_242 Depth=1
	s_mul_i32 s0, s18, s4
	s_mov_b32 s1, exec_lo
	v_cmpx_gt_i32_e64 s0, v0
	s_cbranch_execz .LBB5_241
; %bb.253:                              ;   in Loop: Header=BB5_242 Depth=1
	v_cvt_f32_u32_e32 v1, s4
	s_mul_i32 s12, s4, s21
	v_mov_b32_e32 v12, v0
	s_ashr_i32 s13, s12, 31
	s_lshl_b64 s[12:13], s[12:13], 3
	v_rcp_iflag_f32_e32 v1, v1
	s_add_u32 s12, s20, s12
	s_addc_u32 s13, s33, s13
	s_sub_i32 s18, 0, s4
	v_mul_f32_e32 v1, 0x4f7ffffe, v1
	v_cvt_u32_f32_e32 v1, v1
	v_mul_lo_u32 v3, s18, v1
	s_mov_b32 s18, 0
	v_mul_hi_u32 v3, v1, v3
	v_add_nc_u32_e32 v8, v1, v3
	s_branch .LBB5_256
.LBB5_254:                              ;   in Loop: Header=BB5_256 Depth=2
	v_mov_b32_e32 v13, 0
	v_mov_b32_e32 v14, 0
.LBB5_255:                              ;   in Loop: Header=BB5_256 Depth=2
	v_mad_u64_u32 v[3:4], null, v3, s21, v[1:2]
	v_add_nc_u32_e32 v12, 0x100, v12
	v_fma_f32 v1, 0x80000000, v13, -v14
	v_fma_f32 v7, v14, 0, -v13
	v_ashrrev_i32_e32 v4, 31, v3
	v_lshlrev_b64 v[3:4], 3, v[3:4]
	v_add_co_u32 v3, vcc_lo, s12, v3
	v_add_co_ci_u32_e64 v4, null, s13, v4, vcc_lo
	v_cmp_le_i32_e32 vcc_lo, s0, v12
	global_load_dwordx2 v[5:6], v[3:4], off
	s_or_b32 s18, vcc_lo, s18
	s_waitcnt vmcnt(0)
	v_fmamk_f32 v13, v6, 0x80000000, v5
	v_fmac_f32_e32 v6, 0, v5
	v_add_f32_e32 v5, v1, v13
	v_add_f32_e32 v6, v7, v6
	global_store_dwordx2 v[3:4], v[5:6], off
	s_andn2_b32 exec_lo, exec_lo, s18
	s_cbranch_execz .LBB5_241
.LBB5_256:                              ;   Parent Loop BB5_242 Depth=1
                                        ; =>  This Loop Header: Depth=2
                                        ;       Child Loop BB5_258 Depth 3
	v_mul_hi_u32 v1, v12, v8
	v_mul_lo_u32 v3, v1, s4
	v_add_nc_u32_e32 v4, 1, v1
	v_sub_nc_u32_e32 v3, v12, v3
	v_subrev_nc_u32_e32 v5, s4, v3
	v_cmp_le_u32_e32 vcc_lo, s4, v3
	v_cndmask_b32_e32 v1, v1, v4, vcc_lo
	v_cndmask_b32_e32 v3, v3, v5, vcc_lo
	v_add_nc_u32_e32 v4, 1, v1
	v_cmp_le_u32_e32 vcc_lo, s4, v3
	v_cndmask_b32_e32 v3, v1, v4, vcc_lo
	s_andn2_b32 vcc_lo, exec_lo, s14
	v_mul_lo_u32 v1, v3, s4
	v_sub_nc_u32_e32 v1, v12, v1
	s_cbranch_vccnz .LBB5_254
; %bb.257:                              ;   in Loop: Header=BB5_256 Depth=2
	v_ashrrev_i32_e32 v4, 31, v3
	v_mov_b32_e32 v13, 0
	v_mov_b32_e32 v14, 0
	s_mov_b32 s19, s3
	v_lshlrev_b64 v[6:7], 3, v[3:4]
	v_mov_b32_e32 v4, v1
	v_add_co_u32 v6, vcc_lo, s10, v6
	v_add_co_ci_u32_e64 v7, null, s11, v7, vcc_lo
	.p2align	6
.LBB5_258:                              ;   Parent Loop BB5_242 Depth=1
                                        ;     Parent Loop BB5_256 Depth=2
                                        ; =>    This Inner Loop Header: Depth=3
	v_ashrrev_i32_e32 v5, 31, v4
	s_add_i32 s19, s19, -1
	s_cmp_eq_u32 s19, 0
	v_lshlrev_b64 v[15:16], 3, v[4:5]
	v_add_nc_u32_e32 v4, s21, v4
	v_add_co_u32 v15, vcc_lo, s15, v15
	v_add_co_ci_u32_e64 v16, null, s16, v16, vcc_lo
	global_load_dwordx2 v[17:18], v[6:7], off offset:-4
	global_load_dwordx2 v[15:16], v[15:16], off
	v_add_co_u32 v6, vcc_lo, v6, s6
	v_add_co_ci_u32_e64 v7, null, s7, v7, vcc_lo
	s_waitcnt vmcnt(0)
	v_mul_f32_e32 v5, v18, v16
	v_mul_f32_e32 v16, v17, v16
	v_fma_f32 v5, v17, v15, -v5
	v_fmac_f32_e32 v16, v18, v15
	v_add_f32_e32 v14, v14, v5
	v_add_f32_e32 v13, v13, v16
	s_cbranch_scc0 .LBB5_258
	s_branch .LBB5_255
.LBB5_259:
	s_cmp_ge_i32 s2, s42
	s_waitcnt lgkmcnt(0)
	s_waitcnt_vscnt null, 0x0
	s_barrier
	buffer_gl0_inv
	s_cbranch_scc1 .LBB5_267
; %bb.260:
	v_mov_b32_e32 v1, 0
	s_lshl_b32 s0, s21, 8
	s_branch .LBB5_263
.LBB5_261:                              ;   in Loop: Header=BB5_263 Depth=1
	s_or_b32 exec_lo, exec_lo, s5
	s_waitcnt_vscnt null, 0x0
	s_barrier
	buffer_gl0_inv
.LBB5_262:                              ;   in Loop: Header=BB5_263 Depth=1
	s_cmp_lt_i32 s1, s42
	s_mov_b32 s2, s1
	s_cbranch_scc0 .LBB5_267
.LBB5_263:                              ; =>This Loop Header: Depth=1
                                        ;     Child Loop BB5_266 Depth 2
	s_ashr_i32 s3, s2, 31
	s_lshl_b64 s[4:5], s[2:3], 2
	s_add_u32 s4, s40, s4
	s_addc_u32 s5, s41, s5
	global_load_dword v2, v1, s[4:5]
	s_waitcnt vmcnt(0)
	v_readfirstlane_b32 s1, v2
	s_not_b32 s3, s1
	s_add_i32 s4, s1, -1
	s_cmp_lt_i32 s1, 0
	s_cselect_b32 s3, s3, s4
	s_lshr_b32 s6, s1, 31
	s_add_i32 s1, s2, s6
	s_add_i32 s1, s1, 1
	s_cmp_eq_u32 s3, s2
	s_cselect_b32 s4, -1, 0
	s_cmp_le_i32 s22, s1
	s_cselect_b32 s5, -1, 0
	s_or_b32 s4, s4, s5
	s_and_b32 vcc_lo, exec_lo, s4
	s_cbranch_vccnz .LBB5_262
; %bb.264:                              ;   in Loop: Header=BB5_263 Depth=1
	s_sub_i32 s4, s22, s1
	s_mov_b32 s5, exec_lo
	v_cmpx_gt_i32_e64 s4, v0
	s_cbranch_execz .LBB5_261
; %bb.265:                              ;   in Loop: Header=BB5_263 Depth=1
	v_add3_u32 v2, s6, s2, v11
	v_mov_b32_e32 v3, v0
	s_mov_b32 s6, 0
	v_mul_lo_u32 v2, s21, v2
	.p2align	6
.LBB5_266:                              ;   Parent Loop BB5_263 Depth=1
                                        ; =>  This Inner Loop Header: Depth=2
	v_add_nc_u32_e32 v4, s2, v2
	v_add_nc_u32_e32 v6, s3, v2
	v_add_nc_u32_e32 v3, 0x100, v3
	v_add_nc_u32_e32 v2, s0, v2
	v_ashrrev_i32_e32 v5, 31, v4
	v_ashrrev_i32_e32 v7, 31, v6
	v_lshlrev_b64 v[4:5], 3, v[4:5]
	v_lshlrev_b64 v[6:7], 3, v[6:7]
	v_add_co_u32 v4, vcc_lo, s20, v4
	v_add_co_ci_u32_e64 v5, null, s33, v5, vcc_lo
	v_add_co_u32 v6, vcc_lo, s20, v6
	v_add_co_ci_u32_e64 v7, null, s33, v7, vcc_lo
	s_clause 0x1
	global_load_dwordx2 v[8:9], v[4:5], off
	global_load_dwordx2 v[12:13], v[6:7], off
	v_cmp_le_i32_e32 vcc_lo, s4, v3
	s_waitcnt vmcnt(1)
	global_store_dwordx2 v[6:7], v[8:9], off
	s_waitcnt vmcnt(0)
	global_store_dwordx2 v[4:5], v[12:13], off
	s_or_b32 s6, vcc_lo, s6
	s_andn2_b32 exec_lo, exec_lo, s6
	s_cbranch_execnz .LBB5_266
	s_branch .LBB5_261
.LBB5_267:
	s_endpgm
	.section	.rodata,"a",@progbits
	.p2align	6, 0x0
	.amdhsa_kernel _ZN9rocsolver6v33100L18lasyf_kernel_upperI19rocblas_complex_numIfEPS3_EEviiPiT0_iilS5_lS5_PT_
		.amdhsa_group_segment_fixed_size 2068
		.amdhsa_private_segment_fixed_size 0
		.amdhsa_kernarg_size 72
		.amdhsa_user_sgpr_count 6
		.amdhsa_user_sgpr_private_segment_buffer 1
		.amdhsa_user_sgpr_dispatch_ptr 0
		.amdhsa_user_sgpr_queue_ptr 0
		.amdhsa_user_sgpr_kernarg_segment_ptr 1
		.amdhsa_user_sgpr_dispatch_id 0
		.amdhsa_user_sgpr_flat_scratch_init 0
		.amdhsa_user_sgpr_private_segment_size 0
		.amdhsa_wavefront_size32 1
		.amdhsa_uses_dynamic_stack 0
		.amdhsa_system_sgpr_private_segment_wavefront_offset 0
		.amdhsa_system_sgpr_workgroup_id_x 1
		.amdhsa_system_sgpr_workgroup_id_y 1
		.amdhsa_system_sgpr_workgroup_id_z 0
		.amdhsa_system_sgpr_workgroup_info 0
		.amdhsa_system_vgpr_workitem_id 0
		.amdhsa_next_free_vgpr 33
		.amdhsa_next_free_sgpr 68
		.amdhsa_reserve_vcc 1
		.amdhsa_reserve_flat_scratch 0
		.amdhsa_float_round_mode_32 0
		.amdhsa_float_round_mode_16_64 0
		.amdhsa_float_denorm_mode_32 3
		.amdhsa_float_denorm_mode_16_64 3
		.amdhsa_dx10_clamp 1
		.amdhsa_ieee_mode 1
		.amdhsa_fp16_overflow 0
		.amdhsa_workgroup_processor_mode 1
		.amdhsa_memory_ordered 1
		.amdhsa_forward_progress 1
		.amdhsa_shared_vgpr_count 0
		.amdhsa_exception_fp_ieee_invalid_op 0
		.amdhsa_exception_fp_denorm_src 0
		.amdhsa_exception_fp_ieee_div_zero 0
		.amdhsa_exception_fp_ieee_overflow 0
		.amdhsa_exception_fp_ieee_underflow 0
		.amdhsa_exception_fp_ieee_inexact 0
		.amdhsa_exception_int_div_zero 0
	.end_amdhsa_kernel
	.section	.text._ZN9rocsolver6v33100L18lasyf_kernel_upperI19rocblas_complex_numIfEPS3_EEviiPiT0_iilS5_lS5_PT_,"axG",@progbits,_ZN9rocsolver6v33100L18lasyf_kernel_upperI19rocblas_complex_numIfEPS3_EEviiPiT0_iilS5_lS5_PT_,comdat
.Lfunc_end5:
	.size	_ZN9rocsolver6v33100L18lasyf_kernel_upperI19rocblas_complex_numIfEPS3_EEviiPiT0_iilS5_lS5_PT_, .Lfunc_end5-_ZN9rocsolver6v33100L18lasyf_kernel_upperI19rocblas_complex_numIfEPS3_EEviiPiT0_iilS5_lS5_PT_
                                        ; -- End function
	.set _ZN9rocsolver6v33100L18lasyf_kernel_upperI19rocblas_complex_numIfEPS3_EEviiPiT0_iilS5_lS5_PT_.num_vgpr, 33
	.set _ZN9rocsolver6v33100L18lasyf_kernel_upperI19rocblas_complex_numIfEPS3_EEviiPiT0_iilS5_lS5_PT_.num_agpr, 0
	.set _ZN9rocsolver6v33100L18lasyf_kernel_upperI19rocblas_complex_numIfEPS3_EEviiPiT0_iilS5_lS5_PT_.numbered_sgpr, 68
	.set _ZN9rocsolver6v33100L18lasyf_kernel_upperI19rocblas_complex_numIfEPS3_EEviiPiT0_iilS5_lS5_PT_.num_named_barrier, 0
	.set _ZN9rocsolver6v33100L18lasyf_kernel_upperI19rocblas_complex_numIfEPS3_EEviiPiT0_iilS5_lS5_PT_.private_seg_size, 0
	.set _ZN9rocsolver6v33100L18lasyf_kernel_upperI19rocblas_complex_numIfEPS3_EEviiPiT0_iilS5_lS5_PT_.uses_vcc, 1
	.set _ZN9rocsolver6v33100L18lasyf_kernel_upperI19rocblas_complex_numIfEPS3_EEviiPiT0_iilS5_lS5_PT_.uses_flat_scratch, 0
	.set _ZN9rocsolver6v33100L18lasyf_kernel_upperI19rocblas_complex_numIfEPS3_EEviiPiT0_iilS5_lS5_PT_.has_dyn_sized_stack, 0
	.set _ZN9rocsolver6v33100L18lasyf_kernel_upperI19rocblas_complex_numIfEPS3_EEviiPiT0_iilS5_lS5_PT_.has_recursion, 0
	.set _ZN9rocsolver6v33100L18lasyf_kernel_upperI19rocblas_complex_numIfEPS3_EEviiPiT0_iilS5_lS5_PT_.has_indirect_call, 0
	.section	.AMDGPU.csdata,"",@progbits
; Kernel info:
; codeLenInByte = 12240
; TotalNumSgprs: 70
; NumVgprs: 33
; ScratchSize: 0
; MemoryBound: 0
; FloatMode: 240
; IeeeMode: 1
; LDSByteSize: 2068 bytes/workgroup (compile time only)
; SGPRBlocks: 0
; VGPRBlocks: 4
; NumSGPRsForWavesPerEU: 70
; NumVGPRsForWavesPerEU: 33
; Occupancy: 16
; WaveLimiterHint : 1
; COMPUTE_PGM_RSRC2:SCRATCH_EN: 0
; COMPUTE_PGM_RSRC2:USER_SGPR: 6
; COMPUTE_PGM_RSRC2:TRAP_HANDLER: 0
; COMPUTE_PGM_RSRC2:TGID_X_EN: 1
; COMPUTE_PGM_RSRC2:TGID_Y_EN: 1
; COMPUTE_PGM_RSRC2:TGID_Z_EN: 0
; COMPUTE_PGM_RSRC2:TIDIG_COMP_CNT: 0
	.section	.text._ZN9rocsolver6v33100L18lasyf_kernel_lowerI19rocblas_complex_numIfEPS3_EEviiPiT0_iilS5_lS5_PT_,"axG",@progbits,_ZN9rocsolver6v33100L18lasyf_kernel_lowerI19rocblas_complex_numIfEPS3_EEviiPiT0_iilS5_lS5_PT_,comdat
	.globl	_ZN9rocsolver6v33100L18lasyf_kernel_lowerI19rocblas_complex_numIfEPS3_EEviiPiT0_iilS5_lS5_PT_ ; -- Begin function _ZN9rocsolver6v33100L18lasyf_kernel_lowerI19rocblas_complex_numIfEPS3_EEviiPiT0_iilS5_lS5_PT_
	.p2align	8
	.type	_ZN9rocsolver6v33100L18lasyf_kernel_lowerI19rocblas_complex_numIfEPS3_EEviiPiT0_iilS5_lS5_PT_,@function
_ZN9rocsolver6v33100L18lasyf_kernel_lowerI19rocblas_complex_numIfEPS3_EEviiPiT0_iilS5_lS5_PT_: ; @_ZN9rocsolver6v33100L18lasyf_kernel_lowerI19rocblas_complex_numIfEPS3_EEviiPiT0_iilS5_lS5_PT_
; %bb.0:
	v_cmp_eq_u32_e64 s0, 0, v0
	s_mov_b32 s26, s7
	s_and_saveexec_b32 s1, s0
; %bb.1:
	v_mov_b32_e32 v1, 0
	ds_write_b32 v1, v1 offset:2052
; %bb.2:
	s_or_b32 exec_lo, exec_lo, s1
	s_clause 0x4
	s_load_dwordx2 s[20:21], s[4:5], 0x18
	s_load_dwordx8 s[8:15], s[4:5], 0x20
	s_load_dwordx2 s[22:23], s[4:5], 0x0
	s_load_dwordx4 s[16:19], s[4:5], 0x8
	s_load_dwordx2 s[24:25], s[4:5], 0x40
	s_ashr_i32 s27, s26, 31
	v_lshlrev_b32_e32 v24, 3, v0
	s_waitcnt lgkmcnt(0)
	s_ashr_i32 s3, s20, 31
	s_mul_hi_u32 s1, s8, s26
	s_mul_i32 s4, s8, s27
	s_mul_i32 s5, s9, s26
	s_add_i32 s1, s1, s4
	s_mul_i32 s4, s8, s26
	s_add_i32 s5, s1, s5
	s_mov_b32 s2, s20
	s_lshl_b64 s[28:29], s[4:5], 3
	s_mul_i32 s1, s22, s26
	s_add_u32 s5, s18, s28
	s_addc_u32 s6, s19, s29
	s_lshl_b64 s[30:31], s[2:3], 3
	s_mul_i32 s2, s1, s23
	s_add_u32 s20, s5, s30
	s_addc_u32 s33, s6, s31
	s_ashr_i32 s3, s2, 31
	s_mul_hi_u32 s4, s12, s26
	s_lshl_b64 s[34:35], s[2:3], 3
	s_mul_i32 s1, s12, s27
	s_add_u32 s8, s24, s34
	s_mul_i32 s3, s13, s26
	s_addc_u32 s9, s25, s35
	s_add_i32 s1, s4, s1
	s_mul_i32 s2, s12, s26
	s_add_i32 s3, s1, s3
	v_mul_lo_u32 v23, v0, s21
	s_lshl_b64 s[2:3], s[2:3], 2
	s_add_u32 s40, s10, s2
	s_addc_u32 s41, s11, s3
	s_cmp_lt_i32 s22, 1
	s_cbranch_scc1 .LBB6_264
; %bb.3:
	s_add_i32 s42, s23, -1
	s_cmp_eq_u32 s23, s22
	v_mul_lo_u32 v31, v0, s22
	s_cselect_b32 s43, -1, 0
	s_add_i32 s44, s22, -1
	s_add_i32 s45, s21, 1
	s_add_i32 s46, s22, -2
	s_add_i32 s47, s22, 1
	s_add_u32 s48, s24, s34
	s_addc_u32 s49, s25, s35
	s_add_u32 s4, s28, s30
	s_addc_u32 s5, s29, s31
	s_add_u32 s50, s18, s4
	v_add_co_u32 v1, s6, s48, v24
	s_addc_u32 s51, s19, s5
	v_add_co_u32 v27, s4, s50, v24
	v_add_co_ci_u32_e64 v2, null, s49, 0, s6
	s_add_u32 s52, s48, 4
	v_lshlrev_b32_e32 v25, 2, v0
	v_add_nc_u32_e32 v3, 2, v0
	s_addc_u32 s53, s49, 0
	v_mov_b32_e32 v5, 0
	v_add_co_ci_u32_e64 v28, null, s51, 0, s4
	s_ashr_i32 s5, s21, 31
	s_mov_b32 s4, s21
	v_add_co_u32 v29, vcc_lo, v1, 8
	s_lshl_b64 s[36:37], s[4:5], 3
	v_mul_lo_u32 v34, v0, s21
	s_lshl_b32 s4, s22, 8
	v_add_co_ci_u32_e64 v30, null, 0, v2, vcc_lo
	v_add_co_u32 v32, vcc_lo, v1, 4
	s_mov_b32 s11, 0
	s_mov_b32 s10, s22
	s_ashr_i32 s5, s4, 31
	v_cmp_gt_u32_e64 s1, 0x80, v0
	v_or_b32_e32 v26, 0x400, v25
	v_cmp_gt_u32_e64 s2, 64, v0
	v_cmp_gt_u32_e64 s3, 32, v0
	v_add_co_ci_u32_e64 v33, null, 0, v2, vcc_lo
	v_ashrrev_i32_e32 v35, 31, v31
	v_add_nc_u32_e32 v36, s21, v3
	v_mov_b32_e32 v1, v5
	s_lshl_b64 s[12:13], s[10:11], 3
	s_lshl_b32 s10, s21, 8
	s_lshl_b64 s[38:39], s[4:5], 3
	s_add_u32 s54, s50, 4
	s_addc_u32 s55, s51, 0
                                        ; implicit-def: $sgpr56
	s_branch .LBB6_6
.LBB6_4:                                ;   in Loop: Header=BB6_6 Depth=1
	s_or_b32 exec_lo, exec_lo, s4
	v_add_nc_u32_e32 v1, v4, v1
	s_andn2_b32 s4, s56, exec_lo
	v_cmp_le_i32_e32 vcc_lo, s22, v1
	s_and_b32 s5, vcc_lo, exec_lo
	s_or_b32 s56, s4, s5
.LBB6_5:                                ;   in Loop: Header=BB6_6 Depth=1
	s_or_b32 exec_lo, exec_lo, s57
	s_and_b32 s4, exec_lo, s56
	s_or_b32 s11, s4, s11
	s_andn2_b32 exec_lo, exec_lo, s11
	s_cbranch_execz .LBB6_232
.LBB6_6:                                ; =>This Loop Header: Depth=1
                                        ;     Child Loop BB6_11 Depth 2
                                        ;     Child Loop BB6_16 Depth 2
                                        ;       Child Loop BB6_18 Depth 3
                                        ;     Child Loop BB6_22 Depth 2
                                        ;     Child Loop BB6_66 Depth 2
	;; [unrolled: 1-line block ×4, first 2 shown]
                                        ;       Child Loop BB6_78 Depth 3
                                        ;     Child Loop BB6_83 Depth 2
                                        ;     Child Loop BB6_126 Depth 2
	;; [unrolled: 1-line block ×9, first 2 shown]
	v_cmp_gt_i32_e32 vcc_lo, s42, v1
	s_or_b32 s56, s56, exec_lo
	s_or_b32 s4, s43, vcc_lo
	s_and_saveexec_b32 s57, s4
	s_cbranch_execz .LBB6_5
; %bb.7:                                ;   in Loop: Header=BB6_6 Depth=1
	v_sub_nc_u32_e32 v41, s22, v1
	v_mul_lo_u32 v10, v1, s22
	s_mov_b32 s4, exec_lo
	v_cmp_lt_i32_e64 s5, v0, v41
	v_cmpx_ge_i32_e64 v0, v41
	s_xor_b32 s4, exec_lo, s4
; %bb.8:                                ;   in Loop: Header=BB6_6 Depth=1
	v_mul_lo_u32 v10, v1, s22
; %bb.9:                                ;   in Loop: Header=BB6_6 Depth=1
	s_andn2_saveexec_b32 s6, s4
	s_cbranch_execz .LBB6_13
; %bb.10:                               ;   in Loop: Header=BB6_6 Depth=1
	v_mad_u64_u32 v[6:7], null, s45, v1, v[0:1]
	v_mad_u64_u32 v[8:9], null, s47, v1, v[0:1]
	v_mov_b32_e32 v9, v5
	v_mov_b32_e32 v2, v0
	s_mov_b32 s7, 0
	v_ashrrev_i32_e32 v7, 31, v6
	v_lshlrev_b64 v[8:9], 3, v[8:9]
	v_lshlrev_b64 v[11:12], 3, v[6:7]
	v_add_co_u32 v6, vcc_lo, s48, v8
	v_add_co_ci_u32_e64 v7, null, s49, v9, vcc_lo
	v_add_co_u32 v8, vcc_lo, s50, v11
	v_add_co_ci_u32_e64 v9, null, s51, v12, vcc_lo
	.p2align	6
.LBB6_11:                               ;   Parent Loop BB6_6 Depth=1
                                        ; =>  This Inner Loop Header: Depth=2
	global_load_dwordx2 v[11:12], v[8:9], off
	v_add_nc_u32_e32 v2, 0x100, v2
	v_add_co_u32 v8, vcc_lo, 0x800, v8
	v_add_co_ci_u32_e64 v9, null, 0, v9, vcc_lo
	v_cmp_ge_i32_e32 vcc_lo, v2, v41
	s_or_b32 s7, vcc_lo, s7
	s_waitcnt vmcnt(0)
	global_store_dwordx2 v[6:7], v[11:12], off
	v_add_co_u32 v6, s4, 0x800, v6
	v_add_co_ci_u32_e64 v7, null, 0, v7, s4
	s_andn2_b32 exec_lo, exec_lo, s7
	s_cbranch_execnz .LBB6_11
; %bb.12:                               ;   in Loop: Header=BB6_6 Depth=1
	s_or_b32 exec_lo, exec_lo, s7
.LBB6_13:                               ;   in Loop: Header=BB6_6 Depth=1
	s_or_b32 exec_lo, exec_lo, s6
	v_mov_b32_e32 v2, v5
	v_ashrrev_i32_e32 v11, 31, v10
	s_waitcnt_vscnt null, 0x0
	s_barrier
	buffer_gl0_inv
	v_lshlrev_b64 v[8:9], 3, v[1:2]
	v_lshlrev_b64 v[12:13], 3, v[10:11]
	v_add_co_u32 v39, vcc_lo, s8, v8
	v_add_co_ci_u32_e64 v40, null, s9, v9, vcc_lo
	v_add_co_u32 v6, vcc_lo, v39, v12
	v_add_co_ci_u32_e64 v7, null, v40, v13, vcc_lo
	s_and_saveexec_b32 s7, s5
	s_cbranch_execz .LBB6_20
; %bb.14:                               ;   in Loop: Header=BB6_6 Depth=1
	v_add_co_u32 v14, s4, s52, v8
	v_add_co_ci_u32_e64 v15, null, s53, v9, s4
	v_add_co_u32 v16, s4, v27, v8
	v_add_co_ci_u32_e64 v17, null, v28, v9, s4
	v_mov_b32_e32 v4, v0
	s_mov_b32 s58, 0
	v_cmp_ne_u32_e32 vcc_lo, 0, v1
	s_branch .LBB6_16
.LBB6_15:                               ;   in Loop: Header=BB6_16 Depth=2
	s_or_b32 exec_lo, exec_lo, s59
	v_lshlrev_b64 v[18:19], 3, v[4:5]
	v_add_nc_u32_e32 v4, 0x100, v4
	v_fma_f32 v38, 0x80000000, v22, -v37
	v_fma_f32 v22, v37, 0, -v22
	v_add_co_u32 v16, s6, 0x800, v16
	v_add_co_u32 v18, s4, v6, v18
	v_add_co_ci_u32_e64 v19, null, v7, v19, s4
	v_cmp_ge_i32_e64 s4, v4, v41
	v_add_co_ci_u32_e64 v17, null, 0, v17, s6
	global_load_dwordx2 v[20:21], v[18:19], off
	s_or_b32 s58, s4, s58
	s_waitcnt vmcnt(0)
	v_fmamk_f32 v37, v21, 0x80000000, v20
	v_fmac_f32_e32 v21, 0, v20
	v_add_f32_e32 v20, v38, v37
	v_add_f32_e32 v21, v22, v21
	global_store_dwordx2 v[18:19], v[20:21], off
	s_andn2_b32 exec_lo, exec_lo, s58
	s_cbranch_execz .LBB6_20
.LBB6_16:                               ;   Parent Loop BB6_6 Depth=1
                                        ; =>  This Loop Header: Depth=2
                                        ;       Child Loop BB6_18 Depth 3
	v_mov_b32_e32 v22, 0
	v_mov_b32_e32 v37, 0
	s_and_saveexec_b32 s59, vcc_lo
	s_cbranch_execz .LBB6_15
; %bb.17:                               ;   in Loop: Header=BB6_16 Depth=2
	v_mov_b32_e32 v19, v17
	v_mov_b32_e32 v21, v15
	;; [unrolled: 1-line block ×7, first 2 shown]
	s_mov_b32 s60, 0
	.p2align	6
.LBB6_18:                               ;   Parent Loop BB6_6 Depth=1
                                        ;     Parent Loop BB6_16 Depth=2
                                        ; =>    This Inner Loop Header: Depth=3
	global_load_dwordx2 v[42:43], v[18:19], off
	global_load_dwordx2 v[44:45], v[20:21], off offset:-4
	v_add_nc_u32_e32 v38, -1, v38
	v_add_co_u32 v20, s4, v20, s12
	v_add_co_ci_u32_e64 v21, null, s13, v21, s4
	v_add_co_u32 v18, s4, v18, s36
	v_cmp_eq_u32_e64 s6, 0, v38
	v_add_co_ci_u32_e64 v19, null, s37, v19, s4
	s_or_b32 s60, s6, s60
	s_waitcnt vmcnt(0)
	v_mul_f32_e32 v46, v45, v43
	v_mul_f32_e32 v43, v44, v43
	v_fma_f32 v44, v44, v42, -v46
	v_fmac_f32_e32 v43, v45, v42
	v_add_f32_e32 v37, v37, v44
	v_add_f32_e32 v22, v22, v43
	s_andn2_b32 exec_lo, exec_lo, s60
	s_cbranch_execnz .LBB6_18
; %bb.19:                               ;   in Loop: Header=BB6_16 Depth=2
	s_or_b32 exec_lo, exec_lo, s60
	s_branch .LBB6_15
.LBB6_20:                               ;   in Loop: Header=BB6_6 Depth=1
	s_or_b32 exec_lo, exec_lo, s7
	v_add_nc_u32_e32 v38, -1, v41
	v_bfrev_b32_e32 v4, -2
	v_mov_b32_e32 v14, 0
	s_waitcnt_vscnt null, 0x0
	s_barrier
	v_cmp_lt_i32_e64 s4, v0, v38
	buffer_gl0_inv
	s_and_saveexec_b32 s58, s4
	s_cbranch_execz .LBB6_24
; %bb.21:                               ;   in Loop: Header=BB6_6 Depth=1
	v_add_co_u32 v4, vcc_lo, v12, v8
	v_add_co_ci_u32_e64 v13, null, v13, v9, vcc_lo
	v_mov_b32_e32 v14, 0
	v_add_co_u32 v12, vcc_lo, v29, v4
	v_add_co_ci_u32_e64 v13, null, v30, v13, vcc_lo
	v_bfrev_b32_e32 v4, -2
	v_mov_b32_e32 v15, v0
	s_mov_b32 s59, 0
	.p2align	6
.LBB6_22:                               ;   Parent Loop BB6_6 Depth=1
                                        ; =>  This Inner Loop Header: Depth=2
	global_load_dwordx2 v[16:17], v[12:13], off
	v_add_co_u32 v12, s7, 0x800, v12
	v_add_co_ci_u32_e64 v13, null, 0, v13, s7
	s_waitcnt vmcnt(0)
	v_cmp_gt_f32_e32 vcc_lo, 0, v16
	v_cndmask_b32_e64 v16, v16, -v16, vcc_lo
	v_cmp_gt_f32_e32 vcc_lo, 0, v17
	v_cndmask_b32_e64 v17, v17, -v17, vcc_lo
	v_cmp_eq_u32_e32 vcc_lo, 0x7fffffff, v4
	v_add_f32_e32 v16, v16, v17
	v_add_nc_u32_e32 v17, 1, v15
	v_add_nc_u32_e32 v15, 0x100, v15
	v_cmp_lt_f32_e64 s6, v14, v16
	v_cmp_ge_i32_e64 s7, v15, v38
	s_or_b32 vcc_lo, s6, vcc_lo
	v_cndmask_b32_e32 v4, v4, v17, vcc_lo
	v_cndmask_b32_e32 v14, v14, v16, vcc_lo
	s_or_b32 s59, s7, s59
	s_andn2_b32 exec_lo, exec_lo, s59
	s_cbranch_execnz .LBB6_22
; %bb.23:                               ;   in Loop: Header=BB6_6 Depth=1
	s_or_b32 exec_lo, exec_lo, s59
.LBB6_24:                               ;   in Loop: Header=BB6_6 Depth=1
	s_or_b32 exec_lo, exec_lo, s58
	s_mov_b32 s58, exec_lo
	ds_write_b32 v26, v14
	ds_write_b32 v25, v4
	s_waitcnt lgkmcnt(0)
	s_barrier
	buffer_gl0_inv
	v_cmpx_lt_i32_e32 2, v41
	s_cbranch_execz .LBB6_60
; %bb.25:                               ;   in Loop: Header=BB6_6 Depth=1
	s_and_saveexec_b32 s7, s1
	s_cbranch_execz .LBB6_31
; %bb.26:                               ;   in Loop: Header=BB6_6 Depth=1
	ds_read_b32 v12, v26 offset:512
	ds_read_b32 v13, v25 offset:512
	s_mov_b32 s60, exec_lo
	s_waitcnt lgkmcnt(1)
	v_cmp_lt_f32_e64 s59, v14, v12
	v_cmpx_nlt_f32_e32 v14, v12
	s_cbranch_execz .LBB6_28
; %bb.27:                               ;   in Loop: Header=BB6_6 Depth=1
	v_cmp_eq_f32_e32 vcc_lo, v14, v12
	s_waitcnt lgkmcnt(0)
	v_cmp_gt_i32_e64 s6, v4, v13
	s_andn2_b32 s59, s59, exec_lo
	s_and_b32 s6, vcc_lo, s6
	s_and_b32 s6, s6, exec_lo
	s_or_b32 s59, s59, s6
.LBB6_28:                               ;   in Loop: Header=BB6_6 Depth=1
	s_or_b32 exec_lo, exec_lo, s60
	s_and_saveexec_b32 s6, s59
	s_cbranch_execz .LBB6_30
; %bb.29:                               ;   in Loop: Header=BB6_6 Depth=1
	v_mov_b32_e32 v14, v12
	s_waitcnt lgkmcnt(0)
	v_mov_b32_e32 v4, v13
	ds_write_b32 v26, v12
	ds_write_b32 v25, v13
.LBB6_30:                               ;   in Loop: Header=BB6_6 Depth=1
	s_or_b32 exec_lo, exec_lo, s6
.LBB6_31:                               ;   in Loop: Header=BB6_6 Depth=1
	s_or_b32 exec_lo, exec_lo, s7
	s_waitcnt lgkmcnt(0)
	s_barrier
	buffer_gl0_inv
	s_and_saveexec_b32 s7, s2
	s_cbranch_execz .LBB6_37
; %bb.32:                               ;   in Loop: Header=BB6_6 Depth=1
	ds_read_b32 v12, v26 offset:256
	ds_read_b32 v13, v25 offset:256
	s_mov_b32 s60, exec_lo
	s_waitcnt lgkmcnt(1)
	v_cmp_lt_f32_e64 s59, v14, v12
	v_cmpx_nlt_f32_e32 v14, v12
	s_cbranch_execz .LBB6_34
; %bb.33:                               ;   in Loop: Header=BB6_6 Depth=1
	v_cmp_eq_f32_e32 vcc_lo, v14, v12
	s_waitcnt lgkmcnt(0)
	v_cmp_gt_i32_e64 s6, v4, v13
	s_andn2_b32 s59, s59, exec_lo
	s_and_b32 s6, vcc_lo, s6
	s_and_b32 s6, s6, exec_lo
	s_or_b32 s59, s59, s6
.LBB6_34:                               ;   in Loop: Header=BB6_6 Depth=1
	s_or_b32 exec_lo, exec_lo, s60
	s_and_saveexec_b32 s6, s59
	s_cbranch_execz .LBB6_36
; %bb.35:                               ;   in Loop: Header=BB6_6 Depth=1
	v_mov_b32_e32 v14, v12
	s_waitcnt lgkmcnt(0)
	v_mov_b32_e32 v4, v13
	ds_write_b32 v26, v12
	ds_write_b32 v25, v13
.LBB6_36:                               ;   in Loop: Header=BB6_6 Depth=1
	s_or_b32 exec_lo, exec_lo, s6
.LBB6_37:                               ;   in Loop: Header=BB6_6 Depth=1
	s_or_b32 exec_lo, exec_lo, s7
	s_waitcnt lgkmcnt(0)
	s_barrier
	buffer_gl0_inv
	s_and_b32 exec_lo, exec_lo, s3
	s_cbranch_execz .LBB6_60
; %bb.38:                               ;   in Loop: Header=BB6_6 Depth=1
	ds_read_b32 v12, v26 offset:128
	ds_read_b32 v13, v25 offset:128
	s_mov_b32 s59, exec_lo
	s_waitcnt lgkmcnt(1)
	v_cmp_lt_f32_e64 s7, v14, v12
	v_cmpx_nlt_f32_e32 v14, v12
	s_cbranch_execz .LBB6_40
; %bb.39:                               ;   in Loop: Header=BB6_6 Depth=1
	v_cmp_eq_f32_e32 vcc_lo, v14, v12
	s_waitcnt lgkmcnt(0)
	v_cmp_gt_i32_e64 s6, v4, v13
	s_andn2_b32 s7, s7, exec_lo
	s_and_b32 s6, vcc_lo, s6
	s_and_b32 s6, s6, exec_lo
	s_or_b32 s7, s7, s6
.LBB6_40:                               ;   in Loop: Header=BB6_6 Depth=1
	s_or_b32 exec_lo, exec_lo, s59
	s_and_saveexec_b32 s6, s7
	s_cbranch_execz .LBB6_42
; %bb.41:                               ;   in Loop: Header=BB6_6 Depth=1
	s_waitcnt lgkmcnt(0)
	v_mov_b32_e32 v4, v13
	v_mov_b32_e32 v14, v12
	ds_write_b32 v26, v12
	ds_write_b32 v25, v13
.LBB6_42:                               ;   in Loop: Header=BB6_6 Depth=1
	s_or_b32 exec_lo, exec_lo, s6
	ds_read_b32 v12, v26 offset:64
	s_waitcnt lgkmcnt(1)
	ds_read_b32 v13, v25 offset:64
	s_mov_b32 s59, exec_lo
	s_waitcnt lgkmcnt(1)
	v_cmp_lt_f32_e64 s7, v14, v12
	v_cmpx_nlt_f32_e32 v14, v12
	s_cbranch_execz .LBB6_44
; %bb.43:                               ;   in Loop: Header=BB6_6 Depth=1
	v_cmp_eq_f32_e32 vcc_lo, v14, v12
	s_waitcnt lgkmcnt(0)
	v_cmp_gt_i32_e64 s6, v4, v13
	s_andn2_b32 s7, s7, exec_lo
	s_and_b32 s6, vcc_lo, s6
	s_and_b32 s6, s6, exec_lo
	s_or_b32 s7, s7, s6
.LBB6_44:                               ;   in Loop: Header=BB6_6 Depth=1
	s_or_b32 exec_lo, exec_lo, s59
	s_and_saveexec_b32 s6, s7
	s_cbranch_execz .LBB6_46
; %bb.45:                               ;   in Loop: Header=BB6_6 Depth=1
	s_waitcnt lgkmcnt(0)
	v_mov_b32_e32 v4, v13
	v_mov_b32_e32 v14, v12
	ds_write_b32 v26, v12
	ds_write_b32 v25, v13
.LBB6_46:                               ;   in Loop: Header=BB6_6 Depth=1
	s_or_b32 exec_lo, exec_lo, s6
	ds_read_b32 v12, v26 offset:32
	s_waitcnt lgkmcnt(1)
	;; [unrolled: 28-line block ×5, first 2 shown]
	ds_read_b32 v13, v25 offset:4
	s_waitcnt lgkmcnt(1)
	v_cmp_eq_f32_e32 vcc_lo, v14, v12
	s_waitcnt lgkmcnt(0)
	v_cmp_gt_i32_e64 s6, v4, v13
	v_cmp_lt_f32_e64 s7, v14, v12
	s_and_b32 s6, vcc_lo, s6
	s_or_b32 s6, s7, s6
	s_and_b32 exec_lo, exec_lo, s6
	s_cbranch_execz .LBB6_60
; %bb.59:                               ;   in Loop: Header=BB6_6 Depth=1
	ds_write_b32 v26, v12
	ds_write_b32 v25, v13
.LBB6_60:                               ;   in Loop: Header=BB6_6 Depth=1
	s_or_b32 exec_lo, exec_lo, s58
	s_and_saveexec_b32 s6, s0
	s_cbranch_execz .LBB6_62
; %bb.61:                               ;   in Loop: Header=BB6_6 Depth=1
	global_load_dwordx2 v[12:13], v[6:7], off
	ds_read2st64_b32 v[14:15], v5 offset1:4
	s_waitcnt vmcnt(0)
	v_cmp_gt_f32_e32 vcc_lo, 0, v12
	v_cndmask_b32_e64 v4, v12, -v12, vcc_lo
	v_cmp_gt_f32_e32 vcc_lo, 0, v13
	v_cndmask_b32_e64 v12, v13, -v13, vcc_lo
	s_waitcnt lgkmcnt(0)
	v_add_nc_u32_e32 v13, v14, v1
	v_add_f32_e32 v14, v4, v12
	ds_write_b32 v5, v13 offset:2048
	ds_write_b64 v5, v[14:15] offset:2056
.LBB6_62:                               ;   in Loop: Header=BB6_6 Depth=1
	s_or_b32 exec_lo, exec_lo, s6
	s_waitcnt lgkmcnt(0)
	s_barrier
	buffer_gl0_inv
	ds_read_b64 v[12:13], v5 offset:2056
	v_add_nc_u32_e32 v37, 1, v1
	s_waitcnt lgkmcnt(0)
	v_cmp_lt_f32_e32 vcc_lo, v12, v13
	v_cndmask_b32_e32 v4, v12, v13, vcc_lo
	v_cmp_neq_f32_e32 vcc_lo, 0, v4
	s_cbranch_vccz .LBB6_80
; %bb.63:                               ;   in Loop: Header=BB6_6 Depth=1
	v_mul_f32_e32 v4, 0x3f23f07b, v13
	v_cmp_ge_f32_e32 vcc_lo, v12, v4
	s_cbranch_vccnz .LBB6_175
; %bb.64:                               ;   in Loop: Header=BB6_6 Depth=1
	ds_read_b32 v4, v5 offset:2048
	s_mov_b32 s7, exec_lo
	s_waitcnt lgkmcnt(0)
	v_sub_nc_u32_e32 v16, v4, v1
	v_cmpx_lt_i32_e64 v0, v16
	s_cbranch_execz .LBB6_67
; %bb.65:                               ;   in Loop: Header=BB6_6 Depth=1
	v_add_nc_u32_e32 v12, v0, v1
	v_mov_b32_e32 v17, v0
	s_mov_b32 s58, 0
	v_mad_u64_u32 v[13:14], null, v37, s22, v[12:13]
	v_mov_b32_e32 v14, v5
	v_lshlrev_b64 v[14:15], 3, v[13:14]
	v_mad_u64_u32 v[12:13], null, s21, v12, v[4:5]
	v_add_co_u32 v14, vcc_lo, s48, v14
	v_add_co_ci_u32_e64 v15, null, s49, v15, vcc_lo
	.p2align	6
.LBB6_66:                               ;   Parent Loop BB6_6 Depth=1
                                        ; =>  This Inner Loop Header: Depth=2
	v_ashrrev_i32_e32 v13, 31, v12
	v_add_nc_u32_e32 v17, 0x100, v17
	v_lshlrev_b64 v[18:19], 3, v[12:13]
	v_add_nc_u32_e32 v12, s10, v12
	v_add_co_u32 v18, vcc_lo, s20, v18
	v_add_co_ci_u32_e64 v19, null, s33, v19, vcc_lo
	v_cmp_ge_i32_e32 vcc_lo, v17, v16
	global_load_dwordx2 v[18:19], v[18:19], off
	s_or_b32 s58, vcc_lo, s58
	s_waitcnt vmcnt(0)
	global_store_dwordx2 v[14:15], v[18:19], off
	v_add_co_u32 v14, s6, 0x800, v14
	v_add_co_ci_u32_e64 v15, null, 0, v15, s6
	s_andn2_b32 exec_lo, exec_lo, s58
	s_cbranch_execnz .LBB6_66
.LBB6_67:                               ;   in Loop: Header=BB6_6 Depth=1
	s_or_b32 exec_lo, exec_lo, s7
	v_sub_nc_u32_e32 v12, s22, v4
	s_mov_b32 s6, exec_lo
                                        ; implicit-def: $vgpr13
	v_cmpx_ge_i32_e64 v0, v12
	s_xor_b32 s6, exec_lo, s6
; %bb.68:                               ;   in Loop: Header=BB6_6 Depth=1
	v_mul_lo_u32 v13, v37, s22
                                        ; implicit-def: $vgpr12
                                        ; implicit-def: $vgpr4
; %bb.69:                               ;   in Loop: Header=BB6_6 Depth=1
	s_andn2_saveexec_b32 s7, s6
	s_cbranch_execz .LBB6_73
; %bb.70:                               ;   in Loop: Header=BB6_6 Depth=1
	v_mul_lo_u32 v13, v37, s22
	v_mad_u64_u32 v[14:15], null, s45, v4, v[0:1]
	s_mov_b32 s58, 0
	v_add3_u32 v16, v0, v4, v13
	v_ashrrev_i32_e32 v15, 31, v14
	v_mov_b32_e32 v4, v0
	v_ashrrev_i32_e32 v17, 31, v16
	v_lshlrev_b64 v[14:15], 3, v[14:15]
	v_lshlrev_b64 v[16:17], 3, v[16:17]
	v_add_co_u32 v14, vcc_lo, s50, v14
	v_add_co_ci_u32_e64 v15, null, s51, v15, vcc_lo
	v_add_co_u32 v16, vcc_lo, s48, v16
	v_add_co_ci_u32_e64 v17, null, s49, v17, vcc_lo
	.p2align	6
.LBB6_71:                               ;   Parent Loop BB6_6 Depth=1
                                        ; =>  This Inner Loop Header: Depth=2
	global_load_dwordx2 v[18:19], v[14:15], off
	v_add_nc_u32_e32 v4, 0x100, v4
	v_add_co_u32 v14, vcc_lo, 0x800, v14
	v_add_co_ci_u32_e64 v15, null, 0, v15, vcc_lo
	v_cmp_ge_i32_e32 vcc_lo, v4, v12
	s_or_b32 s58, vcc_lo, s58
	s_waitcnt vmcnt(0)
	global_store_dwordx2 v[16:17], v[18:19], off
	v_add_co_u32 v16, s6, 0x800, v16
	v_add_co_ci_u32_e64 v17, null, 0, v17, s6
	s_andn2_b32 exec_lo, exec_lo, s58
	s_cbranch_execnz .LBB6_71
; %bb.72:                               ;   in Loop: Header=BB6_6 Depth=1
	s_or_b32 exec_lo, exec_lo, s58
.LBB6_73:                               ;   in Loop: Header=BB6_6 Depth=1
	s_or_b32 exec_lo, exec_lo, s7
	v_ashrrev_i32_e32 v14, 31, v13
	s_waitcnt_vscnt null, 0x0
	s_barrier
	buffer_gl0_inv
	s_and_saveexec_b32 s58, s5
	s_cbranch_execz .LBB6_81
; %bb.74:                               ;   in Loop: Header=BB6_6 Depth=1
	ds_read_b32 v17, v5 offset:2048
	v_lshlrev_b64 v[19:20], 3, v[13:14]
	v_add_co_u32 v15, s6, v27, v8
	v_add_co_ci_u32_e64 v16, null, v28, v9, s6
	v_mov_b32_e32 v4, v0
	v_add_co_u32 v12, s6, v39, v19
	v_add_co_ci_u32_e64 v42, null, v40, v20, s6
	s_mov_b32 s59, 0
	v_cmp_ne_u32_e32 vcc_lo, 0, v1
	s_waitcnt lgkmcnt(0)
	v_ashrrev_i32_e32 v18, 31, v17
	v_lshlrev_b64 v[17:18], 3, v[17:18]
	v_add_co_u32 v17, s6, s52, v17
	v_add_co_ci_u32_e64 v18, null, s53, v18, s6
	s_branch .LBB6_76
.LBB6_75:                               ;   in Loop: Header=BB6_76 Depth=2
	s_or_b32 exec_lo, exec_lo, s60
	v_lshlrev_b64 v[19:20], 3, v[4:5]
	v_add_nc_u32_e32 v4, 0x100, v4
	v_fma_f32 v45, 0x80000000, v43, -v44
	v_fma_f32 v43, v44, 0, -v43
	v_add_co_u32 v15, s7, 0x800, v15
	v_add_co_u32 v19, s6, v12, v19
	v_add_co_ci_u32_e64 v20, null, v42, v20, s6
	v_cmp_ge_i32_e64 s6, v4, v41
	v_add_co_ci_u32_e64 v16, null, 0, v16, s7
	global_load_dwordx2 v[21:22], v[19:20], off
	s_or_b32 s59, s6, s59
	s_waitcnt vmcnt(0)
	v_fmamk_f32 v44, v22, 0x80000000, v21
	v_fmac_f32_e32 v22, 0, v21
	v_add_f32_e32 v21, v45, v44
	v_add_f32_e32 v22, v43, v22
	global_store_dwordx2 v[19:20], v[21:22], off
	s_andn2_b32 exec_lo, exec_lo, s59
	s_cbranch_execz .LBB6_81
.LBB6_76:                               ;   Parent Loop BB6_6 Depth=1
                                        ; =>  This Loop Header: Depth=2
                                        ;       Child Loop BB6_78 Depth 3
	v_mov_b32_e32 v43, 0
	v_mov_b32_e32 v44, 0
	s_and_saveexec_b32 s60, vcc_lo
	s_cbranch_execz .LBB6_75
; %bb.77:                               ;   in Loop: Header=BB6_76 Depth=2
	v_mov_b32_e32 v20, v16
	v_mov_b32_e32 v22, v18
	;; [unrolled: 1-line block ×7, first 2 shown]
	s_mov_b32 s61, 0
	.p2align	6
.LBB6_78:                               ;   Parent Loop BB6_6 Depth=1
                                        ;     Parent Loop BB6_76 Depth=2
                                        ; =>    This Inner Loop Header: Depth=3
	global_load_dwordx2 v[46:47], v[19:20], off
	global_load_dwordx2 v[48:49], v[21:22], off offset:-4
	v_add_nc_u32_e32 v45, -1, v45
	v_add_co_u32 v21, s6, v21, s12
	v_add_co_ci_u32_e64 v22, null, s13, v22, s6
	v_add_co_u32 v19, s6, v19, s36
	v_cmp_eq_u32_e64 s7, 0, v45
	v_add_co_ci_u32_e64 v20, null, s37, v20, s6
	s_or_b32 s61, s7, s61
	s_waitcnt vmcnt(0)
	v_mul_f32_e32 v50, v49, v47
	v_mul_f32_e32 v47, v48, v47
	v_fma_f32 v48, v48, v46, -v50
	v_fmac_f32_e32 v47, v49, v46
	v_add_f32_e32 v44, v44, v48
	v_add_f32_e32 v43, v43, v47
	s_andn2_b32 exec_lo, exec_lo, s61
	s_cbranch_execnz .LBB6_78
; %bb.79:                               ;   in Loop: Header=BB6_76 Depth=2
	s_or_b32 exec_lo, exec_lo, s61
	s_branch .LBB6_75
.LBB6_80:                               ;   in Loop: Header=BB6_6 Depth=1
                                        ; implicit-def: $sgpr7
                                        ; implicit-def: $vgpr12
                                        ; implicit-def: $vgpr4
	s_cbranch_execnz .LBB6_224
	s_branch .LBB6_227
.LBB6_81:                               ;   in Loop: Header=BB6_6 Depth=1
	s_or_b32 exec_lo, exec_lo, s58
	s_waitcnt_vscnt null, 0x0
	s_barrier
	buffer_gl0_inv
	ds_read_b32 v4, v5 offset:2048
	v_mov_b32_e32 v12, 0
	s_mov_b32 s58, exec_lo
	s_waitcnt lgkmcnt(0)
	v_sub_nc_u32_e32 v17, v4, v1
	v_bfrev_b32_e32 v4, -2
	v_cmpx_lt_i32_e64 v0, v17
	s_cbranch_execz .LBB6_85
; %bb.82:                               ;   in Loop: Header=BB6_6 Depth=1
	v_lshlrev_b64 v[15:16], 3, v[13:14]
	v_bfrev_b32_e32 v4, -2
	v_mov_b32_e32 v12, 0
	v_mov_b32_e32 v18, v0
	s_mov_b32 s59, 0
	v_add_co_u32 v15, vcc_lo, v15, v8
	v_add_co_ci_u32_e64 v16, null, v16, v9, vcc_lo
	v_add_co_u32 v15, vcc_lo, v32, v15
	v_add_co_ci_u32_e64 v16, null, v33, v16, vcc_lo
	.p2align	6
.LBB6_83:                               ;   Parent Loop BB6_6 Depth=1
                                        ; =>  This Inner Loop Header: Depth=2
	global_load_dwordx2 v[19:20], v[15:16], off offset:-4
	v_add_co_u32 v15, s7, 0x800, v15
	v_add_co_ci_u32_e64 v16, null, 0, v16, s7
	s_waitcnt vmcnt(0)
	v_cmp_gt_f32_e32 vcc_lo, 0, v19
	v_cndmask_b32_e64 v19, v19, -v19, vcc_lo
	v_cmp_gt_f32_e32 vcc_lo, 0, v20
	v_cndmask_b32_e64 v20, v20, -v20, vcc_lo
	v_cmp_eq_u32_e32 vcc_lo, 0x7fffffff, v4
	v_add_f32_e32 v19, v19, v20
	v_add_nc_u32_e32 v20, 1, v18
	v_add_nc_u32_e32 v18, 0x100, v18
	v_cmp_lt_f32_e64 s6, v12, v19
	v_cmp_ge_i32_e64 s7, v18, v17
	s_or_b32 vcc_lo, s6, vcc_lo
	v_cndmask_b32_e32 v4, v4, v20, vcc_lo
	v_cndmask_b32_e32 v12, v12, v19, vcc_lo
	s_or_b32 s59, s7, s59
	s_andn2_b32 exec_lo, exec_lo, s59
	s_cbranch_execnz .LBB6_83
; %bb.84:                               ;   in Loop: Header=BB6_6 Depth=1
	s_or_b32 exec_lo, exec_lo, s59
.LBB6_85:                               ;   in Loop: Header=BB6_6 Depth=1
	s_or_b32 exec_lo, exec_lo, s58
	s_mov_b32 s58, exec_lo
	ds_write_b32 v26, v12
	ds_write_b32 v25, v4
	s_waitcnt lgkmcnt(0)
	s_barrier
	buffer_gl0_inv
	v_cmpx_lt_i32_e32 1, v17
	s_cbranch_execz .LBB6_121
; %bb.86:                               ;   in Loop: Header=BB6_6 Depth=1
	s_and_saveexec_b32 s7, s1
	s_cbranch_execz .LBB6_92
; %bb.87:                               ;   in Loop: Header=BB6_6 Depth=1
	ds_read_b32 v15, v26 offset:512
	ds_read_b32 v16, v25 offset:512
	s_mov_b32 s60, exec_lo
	s_waitcnt lgkmcnt(1)
	v_cmp_lt_f32_e64 s59, v12, v15
	v_cmpx_nlt_f32_e32 v12, v15
	s_cbranch_execz .LBB6_89
; %bb.88:                               ;   in Loop: Header=BB6_6 Depth=1
	v_cmp_eq_f32_e32 vcc_lo, v12, v15
	s_waitcnt lgkmcnt(0)
	v_cmp_gt_i32_e64 s6, v4, v16
	s_andn2_b32 s59, s59, exec_lo
	s_and_b32 s6, vcc_lo, s6
	s_and_b32 s6, s6, exec_lo
	s_or_b32 s59, s59, s6
.LBB6_89:                               ;   in Loop: Header=BB6_6 Depth=1
	s_or_b32 exec_lo, exec_lo, s60
	s_and_saveexec_b32 s6, s59
	s_cbranch_execz .LBB6_91
; %bb.90:                               ;   in Loop: Header=BB6_6 Depth=1
	v_mov_b32_e32 v12, v15
	s_waitcnt lgkmcnt(0)
	v_mov_b32_e32 v4, v16
	ds_write_b32 v26, v15
	ds_write_b32 v25, v16
.LBB6_91:                               ;   in Loop: Header=BB6_6 Depth=1
	s_or_b32 exec_lo, exec_lo, s6
.LBB6_92:                               ;   in Loop: Header=BB6_6 Depth=1
	s_or_b32 exec_lo, exec_lo, s7
	s_waitcnt lgkmcnt(0)
	s_barrier
	buffer_gl0_inv
	s_and_saveexec_b32 s7, s2
	s_cbranch_execz .LBB6_98
; %bb.93:                               ;   in Loop: Header=BB6_6 Depth=1
	ds_read_b32 v15, v26 offset:256
	ds_read_b32 v16, v25 offset:256
	s_mov_b32 s60, exec_lo
	s_waitcnt lgkmcnt(1)
	v_cmp_lt_f32_e64 s59, v12, v15
	v_cmpx_nlt_f32_e32 v12, v15
	s_cbranch_execz .LBB6_95
; %bb.94:                               ;   in Loop: Header=BB6_6 Depth=1
	v_cmp_eq_f32_e32 vcc_lo, v12, v15
	s_waitcnt lgkmcnt(0)
	v_cmp_gt_i32_e64 s6, v4, v16
	s_andn2_b32 s59, s59, exec_lo
	s_and_b32 s6, vcc_lo, s6
	s_and_b32 s6, s6, exec_lo
	s_or_b32 s59, s59, s6
.LBB6_95:                               ;   in Loop: Header=BB6_6 Depth=1
	s_or_b32 exec_lo, exec_lo, s60
	s_and_saveexec_b32 s6, s59
	s_cbranch_execz .LBB6_97
; %bb.96:                               ;   in Loop: Header=BB6_6 Depth=1
	v_mov_b32_e32 v12, v15
	s_waitcnt lgkmcnt(0)
	v_mov_b32_e32 v4, v16
	ds_write_b32 v26, v15
	ds_write_b32 v25, v16
.LBB6_97:                               ;   in Loop: Header=BB6_6 Depth=1
	s_or_b32 exec_lo, exec_lo, s6
.LBB6_98:                               ;   in Loop: Header=BB6_6 Depth=1
	s_or_b32 exec_lo, exec_lo, s7
	s_waitcnt lgkmcnt(0)
	s_barrier
	buffer_gl0_inv
	s_and_b32 exec_lo, exec_lo, s3
	s_cbranch_execz .LBB6_121
; %bb.99:                               ;   in Loop: Header=BB6_6 Depth=1
	ds_read_b32 v15, v26 offset:128
	ds_read_b32 v16, v25 offset:128
	s_mov_b32 s59, exec_lo
	s_waitcnt lgkmcnt(1)
	v_cmp_lt_f32_e64 s7, v12, v15
	v_cmpx_nlt_f32_e32 v12, v15
	s_cbranch_execz .LBB6_101
; %bb.100:                              ;   in Loop: Header=BB6_6 Depth=1
	v_cmp_eq_f32_e32 vcc_lo, v12, v15
	s_waitcnt lgkmcnt(0)
	v_cmp_gt_i32_e64 s6, v4, v16
	s_andn2_b32 s7, s7, exec_lo
	s_and_b32 s6, vcc_lo, s6
	s_and_b32 s6, s6, exec_lo
	s_or_b32 s7, s7, s6
.LBB6_101:                              ;   in Loop: Header=BB6_6 Depth=1
	s_or_b32 exec_lo, exec_lo, s59
	s_and_saveexec_b32 s6, s7
	s_cbranch_execz .LBB6_103
; %bb.102:                              ;   in Loop: Header=BB6_6 Depth=1
	s_waitcnt lgkmcnt(0)
	v_mov_b32_e32 v4, v16
	v_mov_b32_e32 v12, v15
	ds_write_b32 v26, v15
	ds_write_b32 v25, v16
.LBB6_103:                              ;   in Loop: Header=BB6_6 Depth=1
	s_or_b32 exec_lo, exec_lo, s6
	ds_read_b32 v15, v26 offset:64
	s_waitcnt lgkmcnt(1)
	ds_read_b32 v16, v25 offset:64
	s_mov_b32 s59, exec_lo
	s_waitcnt lgkmcnt(1)
	v_cmp_lt_f32_e64 s7, v12, v15
	v_cmpx_nlt_f32_e32 v12, v15
	s_cbranch_execz .LBB6_105
; %bb.104:                              ;   in Loop: Header=BB6_6 Depth=1
	v_cmp_eq_f32_e32 vcc_lo, v12, v15
	s_waitcnt lgkmcnt(0)
	v_cmp_gt_i32_e64 s6, v4, v16
	s_andn2_b32 s7, s7, exec_lo
	s_and_b32 s6, vcc_lo, s6
	s_and_b32 s6, s6, exec_lo
	s_or_b32 s7, s7, s6
.LBB6_105:                              ;   in Loop: Header=BB6_6 Depth=1
	s_or_b32 exec_lo, exec_lo, s59
	s_and_saveexec_b32 s6, s7
	s_cbranch_execz .LBB6_107
; %bb.106:                              ;   in Loop: Header=BB6_6 Depth=1
	s_waitcnt lgkmcnt(0)
	v_mov_b32_e32 v4, v16
	v_mov_b32_e32 v12, v15
	ds_write_b32 v26, v15
	ds_write_b32 v25, v16
.LBB6_107:                              ;   in Loop: Header=BB6_6 Depth=1
	s_or_b32 exec_lo, exec_lo, s6
	ds_read_b32 v15, v26 offset:32
	s_waitcnt lgkmcnt(1)
	;; [unrolled: 28-line block ×5, first 2 shown]
	ds_read_b32 v16, v25 offset:4
	s_waitcnt lgkmcnt(1)
	v_cmp_eq_f32_e32 vcc_lo, v12, v15
	s_waitcnt lgkmcnt(0)
	v_cmp_gt_i32_e64 s6, v4, v16
	v_cmp_lt_f32_e64 s7, v12, v15
	s_and_b32 s6, vcc_lo, s6
	s_or_b32 s6, s7, s6
	s_and_b32 exec_lo, exec_lo, s6
	s_cbranch_execz .LBB6_121
; %bb.120:                              ;   in Loop: Header=BB6_6 Depth=1
	ds_write_b32 v26, v15
	ds_write_b32 v25, v16
.LBB6_121:                              ;   in Loop: Header=BB6_6 Depth=1
	s_or_b32 exec_lo, exec_lo, s58
	s_and_saveexec_b32 s6, s0
	s_cbranch_execz .LBB6_123
; %bb.122:                              ;   in Loop: Header=BB6_6 Depth=1
	ds_read_b32 v4, v5 offset:1024
	s_waitcnt lgkmcnt(0)
	ds_write_b32 v5, v4 offset:2064
.LBB6_123:                              ;   in Loop: Header=BB6_6 Depth=1
	s_or_b32 exec_lo, exec_lo, s6
	ds_read_b32 v4, v5 offset:2048
	s_waitcnt lgkmcnt(0)
	v_cmp_le_i32_e32 vcc_lo, s44, v4
	v_readfirstlane_b32 s6, v4
	s_cbranch_vccnz .LBB6_168
; %bb.124:                              ;   in Loop: Header=BB6_6 Depth=1
	v_bfrev_b32_e32 v4, -2
	v_mov_b32_e32 v12, 0
	s_not_b32 s7, s6
	s_mov_b32 s59, exec_lo
	s_add_i32 s58, s22, s7
	v_cmpx_gt_i32_e64 s58, v0
	s_cbranch_execz .LBB6_128
; %bb.125:                              ;   in Loop: Header=BB6_6 Depth=1
	v_lshlrev_b64 v[14:15], 3, v[13:14]
	s_ashr_i32 s7, s6, 31
	v_bfrev_b32_e32 v4, -2
	s_lshl_b64 s[6:7], s[6:7], 3
	v_mov_b32_e32 v16, v0
	s_mov_b32 s60, 0
	v_add_co_u32 v12, vcc_lo, s6, v14
	v_add_co_ci_u32_e64 v15, null, s7, v15, vcc_lo
	v_add_co_u32 v14, vcc_lo, v29, v12
	v_add_co_ci_u32_e64 v15, null, v30, v15, vcc_lo
	v_mov_b32_e32 v12, 0
	.p2align	6
.LBB6_126:                              ;   Parent Loop BB6_6 Depth=1
                                        ; =>  This Inner Loop Header: Depth=2
	global_load_dwordx2 v[17:18], v[14:15], off
	v_add_co_u32 v14, s7, 0x800, v14
	v_add_co_ci_u32_e64 v15, null, 0, v15, s7
	s_waitcnt vmcnt(0)
	v_cmp_gt_f32_e32 vcc_lo, 0, v17
	v_cndmask_b32_e64 v17, v17, -v17, vcc_lo
	v_cmp_gt_f32_e32 vcc_lo, 0, v18
	v_cndmask_b32_e64 v18, v18, -v18, vcc_lo
	v_cmp_eq_u32_e32 vcc_lo, 0x7fffffff, v4
	v_add_f32_e32 v17, v17, v18
	v_add_nc_u32_e32 v18, 1, v16
	v_add_nc_u32_e32 v16, 0x100, v16
	v_cmp_lt_f32_e64 s6, v12, v17
	v_cmp_le_i32_e64 s7, s58, v16
	s_or_b32 vcc_lo, s6, vcc_lo
	v_cndmask_b32_e32 v4, v4, v18, vcc_lo
	v_cndmask_b32_e32 v12, v12, v17, vcc_lo
	s_or_b32 s60, s7, s60
	s_andn2_b32 exec_lo, exec_lo, s60
	s_cbranch_execnz .LBB6_126
; %bb.127:                              ;   in Loop: Header=BB6_6 Depth=1
	s_or_b32 exec_lo, exec_lo, s60
.LBB6_128:                              ;   in Loop: Header=BB6_6 Depth=1
	s_or_b32 exec_lo, exec_lo, s59
	s_cmp_lt_i32 s58, 2
	ds_write_b32 v26, v12
	ds_write_b32 v25, v4
	s_waitcnt lgkmcnt(0)
	s_barrier
	buffer_gl0_inv
	s_cbranch_scc1 .LBB6_165
; %bb.129:                              ;   in Loop: Header=BB6_6 Depth=1
	s_and_saveexec_b32 s7, s1
	s_cbranch_execz .LBB6_135
; %bb.130:                              ;   in Loop: Header=BB6_6 Depth=1
	ds_read_b32 v14, v26 offset:512
	ds_read_b32 v15, v25 offset:512
	s_mov_b32 s59, exec_lo
	s_waitcnt lgkmcnt(1)
	v_cmp_lt_f32_e64 s58, v12, v14
	v_cmpx_nlt_f32_e32 v12, v14
	s_cbranch_execz .LBB6_132
; %bb.131:                              ;   in Loop: Header=BB6_6 Depth=1
	v_cmp_eq_f32_e32 vcc_lo, v12, v14
	s_waitcnt lgkmcnt(0)
	v_cmp_gt_i32_e64 s6, v4, v15
	s_andn2_b32 s58, s58, exec_lo
	s_and_b32 s6, vcc_lo, s6
	s_and_b32 s6, s6, exec_lo
	s_or_b32 s58, s58, s6
.LBB6_132:                              ;   in Loop: Header=BB6_6 Depth=1
	s_or_b32 exec_lo, exec_lo, s59
	s_and_saveexec_b32 s6, s58
	s_cbranch_execz .LBB6_134
; %bb.133:                              ;   in Loop: Header=BB6_6 Depth=1
	v_mov_b32_e32 v12, v14
	s_waitcnt lgkmcnt(0)
	v_mov_b32_e32 v4, v15
	ds_write_b32 v26, v14
	ds_write_b32 v25, v15
.LBB6_134:                              ;   in Loop: Header=BB6_6 Depth=1
	s_or_b32 exec_lo, exec_lo, s6
.LBB6_135:                              ;   in Loop: Header=BB6_6 Depth=1
	s_or_b32 exec_lo, exec_lo, s7
	s_waitcnt lgkmcnt(0)
	s_barrier
	buffer_gl0_inv
	s_and_saveexec_b32 s7, s2
	s_cbranch_execz .LBB6_141
; %bb.136:                              ;   in Loop: Header=BB6_6 Depth=1
	ds_read_b32 v14, v26 offset:256
	ds_read_b32 v15, v25 offset:256
	s_mov_b32 s59, exec_lo
	s_waitcnt lgkmcnt(1)
	v_cmp_lt_f32_e64 s58, v12, v14
	v_cmpx_nlt_f32_e32 v12, v14
	s_cbranch_execz .LBB6_138
; %bb.137:                              ;   in Loop: Header=BB6_6 Depth=1
	v_cmp_eq_f32_e32 vcc_lo, v12, v14
	s_waitcnt lgkmcnt(0)
	v_cmp_gt_i32_e64 s6, v4, v15
	s_andn2_b32 s58, s58, exec_lo
	s_and_b32 s6, vcc_lo, s6
	s_and_b32 s6, s6, exec_lo
	s_or_b32 s58, s58, s6
.LBB6_138:                              ;   in Loop: Header=BB6_6 Depth=1
	s_or_b32 exec_lo, exec_lo, s59
	s_and_saveexec_b32 s6, s58
	s_cbranch_execz .LBB6_140
; %bb.139:                              ;   in Loop: Header=BB6_6 Depth=1
	v_mov_b32_e32 v12, v14
	s_waitcnt lgkmcnt(0)
	v_mov_b32_e32 v4, v15
	ds_write_b32 v26, v14
	ds_write_b32 v25, v15
.LBB6_140:                              ;   in Loop: Header=BB6_6 Depth=1
	s_or_b32 exec_lo, exec_lo, s6
.LBB6_141:                              ;   in Loop: Header=BB6_6 Depth=1
	s_or_b32 exec_lo, exec_lo, s7
	s_waitcnt lgkmcnt(0)
	s_barrier
	buffer_gl0_inv
	s_and_saveexec_b32 s58, s3
	s_cbranch_execz .LBB6_164
; %bb.142:                              ;   in Loop: Header=BB6_6 Depth=1
	ds_read_b32 v14, v26 offset:128
	ds_read_b32 v15, v25 offset:128
	s_mov_b32 s59, exec_lo
	s_waitcnt lgkmcnt(1)
	v_cmp_lt_f32_e64 s7, v12, v14
	v_cmpx_nlt_f32_e32 v12, v14
	s_cbranch_execz .LBB6_144
; %bb.143:                              ;   in Loop: Header=BB6_6 Depth=1
	v_cmp_eq_f32_e32 vcc_lo, v12, v14
	s_waitcnt lgkmcnt(0)
	v_cmp_gt_i32_e64 s6, v4, v15
	s_andn2_b32 s7, s7, exec_lo
	s_and_b32 s6, vcc_lo, s6
	s_and_b32 s6, s6, exec_lo
	s_or_b32 s7, s7, s6
.LBB6_144:                              ;   in Loop: Header=BB6_6 Depth=1
	s_or_b32 exec_lo, exec_lo, s59
	s_and_saveexec_b32 s6, s7
	s_cbranch_execz .LBB6_146
; %bb.145:                              ;   in Loop: Header=BB6_6 Depth=1
	s_waitcnt lgkmcnt(0)
	v_mov_b32_e32 v4, v15
	v_mov_b32_e32 v12, v14
	ds_write_b32 v26, v14
	ds_write_b32 v25, v15
.LBB6_146:                              ;   in Loop: Header=BB6_6 Depth=1
	s_or_b32 exec_lo, exec_lo, s6
	ds_read_b32 v14, v26 offset:64
	s_waitcnt lgkmcnt(1)
	ds_read_b32 v15, v25 offset:64
	s_mov_b32 s59, exec_lo
	s_waitcnt lgkmcnt(1)
	v_cmp_lt_f32_e64 s7, v12, v14
	v_cmpx_nlt_f32_e32 v12, v14
	s_cbranch_execz .LBB6_148
; %bb.147:                              ;   in Loop: Header=BB6_6 Depth=1
	v_cmp_eq_f32_e32 vcc_lo, v12, v14
	s_waitcnt lgkmcnt(0)
	v_cmp_gt_i32_e64 s6, v4, v15
	s_andn2_b32 s7, s7, exec_lo
	s_and_b32 s6, vcc_lo, s6
	s_and_b32 s6, s6, exec_lo
	s_or_b32 s7, s7, s6
.LBB6_148:                              ;   in Loop: Header=BB6_6 Depth=1
	s_or_b32 exec_lo, exec_lo, s59
	s_and_saveexec_b32 s6, s7
	s_cbranch_execz .LBB6_150
; %bb.149:                              ;   in Loop: Header=BB6_6 Depth=1
	s_waitcnt lgkmcnt(0)
	v_mov_b32_e32 v4, v15
	v_mov_b32_e32 v12, v14
	ds_write_b32 v26, v14
	ds_write_b32 v25, v15
.LBB6_150:                              ;   in Loop: Header=BB6_6 Depth=1
	s_or_b32 exec_lo, exec_lo, s6
	ds_read_b32 v14, v26 offset:32
	s_waitcnt lgkmcnt(1)
	;; [unrolled: 28-line block ×5, first 2 shown]
	ds_read_b32 v15, v25 offset:4
	s_waitcnt lgkmcnt(1)
	v_cmp_eq_f32_e32 vcc_lo, v12, v14
	s_waitcnt lgkmcnt(0)
	v_cmp_gt_i32_e64 s6, v4, v15
	v_cmp_lt_f32_e64 s7, v12, v14
	s_and_b32 s6, vcc_lo, s6
	s_or_b32 s6, s7, s6
	s_and_b32 exec_lo, exec_lo, s6
	s_cbranch_execz .LBB6_164
; %bb.163:                              ;   in Loop: Header=BB6_6 Depth=1
	ds_write_b32 v26, v14
	ds_write_b32 v25, v15
.LBB6_164:                              ;   in Loop: Header=BB6_6 Depth=1
	s_or_b32 exec_lo, exec_lo, s58
.LBB6_165:                              ;   in Loop: Header=BB6_6 Depth=1
	s_and_saveexec_b32 s6, s0
	s_cbranch_execz .LBB6_167
; %bb.166:                              ;   in Loop: Header=BB6_6 Depth=1
	ds_read_b32 v4, v5 offset:2064
	ds_read_b32 v12, v5 offset:1024
	s_waitcnt lgkmcnt(0)
	v_cmp_lt_f32_e32 vcc_lo, v4, v12
	v_cndmask_b32_e32 v4, v4, v12, vcc_lo
	ds_write_b32 v5, v4 offset:2064
.LBB6_167:                              ;   in Loop: Header=BB6_6 Depth=1
	s_or_b32 exec_lo, exec_lo, s6
.LBB6_168:                              ;   in Loop: Header=BB6_6 Depth=1
	s_waitcnt lgkmcnt(0)
	s_barrier
	buffer_gl0_inv
	ds_read_b64 v[14:15], v5 offset:2056
	ds_read_b32 v4, v5 offset:2064
	s_waitcnt lgkmcnt(0)
	v_div_scale_f32 v12, null, v4, v4, v15
	v_rcp_f32_e32 v16, v12
	v_fma_f32 v17, -v12, v16, 1.0
	v_fmac_f32_e32 v16, v17, v16
	v_div_scale_f32 v17, vcc_lo, v15, v4, v15
	v_mul_f32_e32 v18, v17, v16
	v_fma_f32 v19, -v12, v18, v17
	v_fmac_f32_e32 v18, v19, v16
	v_fma_f32 v12, -v12, v18, v17
	v_div_fmas_f32 v12, v12, v16, v18
	v_mul_f32_e32 v16, 0x3f23f07b, v15
	v_div_fixup_f32 v12, v12, v4, v15
	v_mul_f32_e32 v12, v16, v12
	v_cmp_ge_f32_e32 vcc_lo, v14, v12
	s_cbranch_vccnz .LBB6_175
; %bb.169:                              ;   in Loop: Header=BB6_6 Depth=1
	ds_read_b32 v12, v5 offset:2048
	v_mul_f32_e32 v4, 0x3f23f07b, v4
	v_mov_b32_e32 v17, 2
	s_mov_b32 s58, 0
	s_mov_b32 s6, exec_lo
	s_waitcnt lgkmcnt(0)
	v_add_nc_u32_e32 v14, v12, v13
	v_ashrrev_i32_e32 v15, 31, v14
	v_lshlrev_b64 v[14:15], 3, v[14:15]
	v_add_co_u32 v14, vcc_lo, s8, v14
	v_add_co_ci_u32_e64 v15, null, s9, v15, vcc_lo
	global_load_dwordx2 v[14:15], v[14:15], off
	s_waitcnt vmcnt(0)
	v_cmp_gt_f32_e32 vcc_lo, 0, v14
	v_cndmask_b32_e64 v14, v14, -v14, vcc_lo
	v_cmp_gt_f32_e32 vcc_lo, 0, v15
	v_cndmask_b32_e64 v15, v15, -v15, vcc_lo
	v_add_f32_e32 v14, v14, v15
	v_cmpx_ge_f32_e32 v14, v4
	s_cbranch_execz .LBB6_174
; %bb.170:                              ;   in Loop: Header=BB6_6 Depth=1
	s_and_saveexec_b32 s7, s5
	s_cbranch_execz .LBB6_173
; %bb.171:                              ;   in Loop: Header=BB6_6 Depth=1
	v_mad_u64_u32 v[15:16], null, s47, v1, v[0:1]
	v_add3_u32 v13, v0, v1, v13
	v_mov_b32_e32 v4, v0
	v_ashrrev_i32_e32 v14, 31, v13
	v_ashrrev_i32_e32 v16, 31, v15
	v_lshlrev_b64 v[13:14], 3, v[13:14]
	v_lshlrev_b64 v[15:16], 3, v[15:16]
	v_add_co_u32 v13, vcc_lo, s48, v13
	v_add_co_ci_u32_e64 v14, null, s49, v14, vcc_lo
	v_add_co_u32 v15, vcc_lo, s48, v15
	v_add_co_ci_u32_e64 v16, null, s49, v16, vcc_lo
	.p2align	6
.LBB6_172:                              ;   Parent Loop BB6_6 Depth=1
                                        ; =>  This Inner Loop Header: Depth=2
	global_load_dwordx2 v[17:18], v[13:14], off
	v_add_nc_u32_e32 v4, 0x100, v4
	v_add_co_u32 v13, vcc_lo, 0x800, v13
	v_add_co_ci_u32_e64 v14, null, 0, v14, vcc_lo
	v_cmp_ge_i32_e32 vcc_lo, v4, v41
	s_or_b32 s58, vcc_lo, s58
	s_waitcnt vmcnt(0)
	global_store_dwordx2 v[15:16], v[17:18], off
	v_add_co_u32 v15, s5, 0x800, v15
	v_add_co_ci_u32_e64 v16, null, 0, v16, s5
	s_andn2_b32 exec_lo, exec_lo, s58
	s_cbranch_execnz .LBB6_172
.LBB6_173:                              ;   in Loop: Header=BB6_6 Depth=1
	s_or_b32 exec_lo, exec_lo, s7
	v_mov_b32_e32 v17, 1
	s_mov_b32 s58, exec_lo
	s_waitcnt_vscnt null, 0x0
	s_barrier
	buffer_gl0_inv
.LBB6_174:                              ;   in Loop: Header=BB6_6 Depth=1
	s_or_b32 exec_lo, exec_lo, s6
	s_branch .LBB6_176
.LBB6_175:                              ;   in Loop: Header=BB6_6 Depth=1
	v_mov_b32_e32 v17, 1
	v_mov_b32_e32 v12, v1
	s_mov_b32 s58, -1
.LBB6_176:                              ;   in Loop: Header=BB6_6 Depth=1
	v_add_nc_u32_e32 v4, v17, v1
	s_mov_b32 s59, exec_lo
	v_add_nc_u32_e32 v18, -1, v4
	v_cmpx_ne_u32_e64 v12, v18
	s_cbranch_execz .LBB6_192
; %bb.177:                              ;   in Loop: Header=BB6_6 Depth=1
	s_and_saveexec_b32 s5, s0
	s_cbranch_execz .LBB6_179
; %bb.178:                              ;   in Loop: Header=BB6_6 Depth=1
	v_mul_lo_u32 v13, v18, s45
	v_mul_lo_u32 v15, v12, s45
	v_ashrrev_i32_e32 v14, 31, v13
	v_ashrrev_i32_e32 v16, 31, v15
	v_lshlrev_b64 v[13:14], 3, v[13:14]
	v_lshlrev_b64 v[15:16], 3, v[15:16]
	v_add_co_u32 v13, vcc_lo, s20, v13
	v_add_co_ci_u32_e64 v14, null, s33, v14, vcc_lo
	v_add_co_u32 v15, vcc_lo, s20, v15
	v_add_co_ci_u32_e64 v16, null, s33, v16, vcc_lo
	global_load_dwordx2 v[13:14], v[13:14], off
	s_waitcnt vmcnt(0)
	global_store_dwordx2 v[15:16], v[13:14], off
.LBB6_179:                              ;   in Loop: Header=BB6_6 Depth=1
	s_or_b32 exec_lo, exec_lo, s5
	v_sub_nc_u32_e32 v19, v12, v4
	s_mov_b32 s6, exec_lo
	v_cmpx_lt_i32_e64 v0, v19
	s_cbranch_execz .LBB6_182
; %bb.180:                              ;   in Loop: Header=BB6_6 Depth=1
	v_add3_u32 v13, v0, v17, v1
	v_mad_u64_u32 v[15:16], null, v18, s21, v[4:5]
	v_mov_b32_e32 v16, v0
	s_mov_b32 s7, 0
	v_mad_u64_u32 v[13:14], null, s21, v13, v[12:13]
	.p2align	6
.LBB6_181:                              ;   Parent Loop BB6_6 Depth=1
                                        ; =>  This Inner Loop Header: Depth=2
	v_add_nc_u32_e32 v20, v15, v16
	v_ashrrev_i32_e32 v14, 31, v13
	v_add_nc_u32_e32 v16, 0x100, v16
	v_ashrrev_i32_e32 v21, 31, v20
	v_lshlrev_b64 v[41:42], 3, v[13:14]
	v_add_nc_u32_e32 v13, s10, v13
	v_lshlrev_b64 v[20:21], 3, v[20:21]
	v_add_co_u32 v41, s5, s20, v41
	v_add_co_ci_u32_e64 v42, null, s33, v42, s5
	v_add_co_u32 v20, vcc_lo, s20, v20
	v_add_co_ci_u32_e64 v21, null, s33, v21, vcc_lo
	v_cmp_ge_i32_e32 vcc_lo, v16, v19
	global_load_dwordx2 v[20:21], v[20:21], off
	s_or_b32 s7, vcc_lo, s7
	s_waitcnt vmcnt(0)
	global_store_dwordx2 v[41:42], v[20:21], off
	s_andn2_b32 exec_lo, exec_lo, s7
	s_cbranch_execnz .LBB6_181
.LBB6_182:                              ;   in Loop: Header=BB6_6 Depth=1
	s_or_b32 exec_lo, exec_lo, s6
	v_xad_u32 v15, v12, -1, s22
	s_mov_b32 s6, exec_lo
	v_cmpx_lt_i32_e64 v0, v15
	s_cbranch_execz .LBB6_185
; %bb.183:                              ;   in Loop: Header=BB6_6 Depth=1
	v_mul_lo_u32 v16, v18, s21
	v_mad_u64_u32 v[13:14], null, s45, v12, 1
	s_mov_b32 s7, 0
	v_add3_u32 v14, v12, v16, 1
	v_mov_b32_e32 v16, v0
	.p2align	6
.LBB6_184:                              ;   Parent Loop BB6_6 Depth=1
                                        ; =>  This Inner Loop Header: Depth=2
	v_add_nc_u32_e32 v18, v14, v16
	v_add_nc_u32_e32 v20, v13, v16
	;; [unrolled: 1-line block ×3, first 2 shown]
	v_ashrrev_i32_e32 v19, 31, v18
	v_ashrrev_i32_e32 v21, 31, v20
	v_lshlrev_b64 v[18:19], 3, v[18:19]
	v_lshlrev_b64 v[20:21], 3, v[20:21]
	v_add_co_u32 v18, vcc_lo, s20, v18
	v_add_co_ci_u32_e64 v19, null, s33, v19, vcc_lo
	v_cmp_ge_i32_e32 vcc_lo, v16, v15
	v_add_co_u32 v20, s5, s20, v20
	global_load_dwordx2 v[18:19], v[18:19], off
	v_add_co_ci_u32_e64 v21, null, s33, v21, s5
	s_or_b32 s7, vcc_lo, s7
	s_waitcnt vmcnt(0)
	global_store_dwordx2 v[20:21], v[18:19], off
	s_andn2_b32 exec_lo, exec_lo, s7
	s_cbranch_execnz .LBB6_184
.LBB6_185:                              ;   in Loop: Header=BB6_6 Depth=1
	s_or_b32 exec_lo, exec_lo, s6
	s_mov_b32 s5, exec_lo
	s_waitcnt_vscnt null, 0x0
	s_barrier
	buffer_gl0_inv
	v_cmpx_lt_u32_e64 v0, v1
	s_cbranch_execz .LBB6_188
; %bb.186:                              ;   in Loop: Header=BB6_6 Depth=1
	v_ashrrev_i32_e32 v13, 31, v4
	v_mov_b32_e32 v14, v34
	v_mov_b32_e32 v15, v0
	s_mov_b32 s6, 0
	s_inst_prefetch 0x1
	.p2align	6
.LBB6_187:                              ;   Parent Loop BB6_6 Depth=1
                                        ; =>  This Inner Loop Header: Depth=2
	v_add_nc_u32_e32 v18, v12, v14
	v_ashrrev_i32_e32 v16, 31, v14
	v_add_co_u32 v20, vcc_lo, v14, v4
	v_add_nc_u32_e32 v15, 0x100, v15
	v_ashrrev_i32_e32 v19, 31, v18
	v_add_co_ci_u32_e64 v21, null, v16, v13, vcc_lo
	v_add_nc_u32_e32 v14, s10, v14
	v_lshlrev_b64 v[18:19], 3, v[18:19]
	v_lshlrev_b64 v[20:21], 3, v[20:21]
	v_add_co_u32 v18, vcc_lo, s20, v18
	v_add_co_ci_u32_e64 v19, null, s33, v19, vcc_lo
	v_add_co_u32 v20, vcc_lo, s20, v20
	v_add_co_ci_u32_e64 v21, null, s33, v21, vcc_lo
	s_clause 0x1
	global_load_dwordx2 v[41:42], v[18:19], off
	global_load_dwordx2 v[43:44], v[20:21], off offset:-8
	v_cmp_ge_u32_e32 vcc_lo, v15, v1
	s_waitcnt vmcnt(1)
	global_store_dwordx2 v[20:21], v[41:42], off offset:-8
	s_waitcnt vmcnt(0)
	global_store_dwordx2 v[18:19], v[43:44], off
	s_or_b32 s6, vcc_lo, s6
	s_andn2_b32 exec_lo, exec_lo, s6
	s_cbranch_execnz .LBB6_187
.LBB6_188:                              ;   in Loop: Header=BB6_6 Depth=1
	s_inst_prefetch 0x2
	s_or_b32 exec_lo, exec_lo, s5
	v_cmp_lt_u32_e32 vcc_lo, v0, v4
	s_and_b32 exec_lo, exec_lo, vcc_lo
	s_cbranch_execz .LBB6_191
; %bb.189:                              ;   in Loop: Header=BB6_6 Depth=1
	v_add_co_u32 v14, vcc_lo, v31, v17
	v_add_co_ci_u32_e64 v16, null, 0, v35, vcc_lo
	v_add_nc_u32_e32 v13, v31, v12
	v_add_co_u32 v15, vcc_lo, v14, v1
	v_add_co_ci_u32_e64 v16, null, 0, v16, vcc_lo
	v_ashrrev_i32_e32 v14, 31, v13
	v_mov_b32_e32 v17, v0
	s_mov_b32 s5, 0
	v_lshlrev_b64 v[15:16], 3, v[15:16]
	s_mov_b64 s[6:7], s[8:9]
	v_lshlrev_b64 v[13:14], 3, v[13:14]
	v_add_co_u32 v15, vcc_lo, v15, -8
	v_add_co_ci_u32_e64 v16, null, -1, v16, vcc_lo
	.p2align	6
.LBB6_190:                              ;   Parent Loop BB6_6 Depth=1
                                        ; =>  This Inner Loop Header: Depth=2
	v_add_co_u32 v18, vcc_lo, s6, v13
	v_add_co_ci_u32_e64 v19, null, s7, v14, vcc_lo
	v_add_co_u32 v20, vcc_lo, s6, v15
	v_add_co_ci_u32_e64 v21, null, s7, v16, vcc_lo
	s_clause 0x1
	global_load_dwordx2 v[41:42], v[18:19], off
	global_load_dwordx2 v[43:44], v[20:21], off
	v_add_nc_u32_e32 v17, 0x100, v17
	s_add_u32 s6, s6, s38
	s_addc_u32 s7, s7, s39
	s_waitcnt vmcnt(1)
	global_store_dwordx2 v[20:21], v[41:42], off
	s_waitcnt vmcnt(0)
	global_store_dwordx2 v[18:19], v[43:44], off
	v_cmp_ge_u32_e32 vcc_lo, v17, v4
	s_or_b32 s5, vcc_lo, s5
	s_andn2_b32 exec_lo, exec_lo, s5
	s_cbranch_execnz .LBB6_190
.LBB6_191:                              ;   in Loop: Header=BB6_6 Depth=1
	s_waitcnt_vscnt null, 0x0
	s_barrier
	buffer_gl0_inv
.LBB6_192:                              ;   in Loop: Header=BB6_6 Depth=1
	s_or_b32 exec_lo, exec_lo, s59
	s_xor_b32 s5, s58, -1
	s_and_saveexec_b32 s6, s5
	s_xor_b32 s6, exec_lo, s6
	s_cbranch_execz .LBB6_212
; %bb.193:                              ;   in Loop: Header=BB6_6 Depth=1
	s_mov_b32 s7, exec_lo
	v_cmpx_gt_i32_e64 s46, v1
	s_cbranch_execz .LBB6_209
; %bb.194:                              ;   in Loop: Header=BB6_6 Depth=1
	v_mul_lo_u32 v4, v37, s22
                                        ; implicit-def: $vgpr19
                                        ; implicit-def: $vgpr20
	v_lshlrev_b64 v[10:11], 3, v[4:5]
	v_add_co_u32 v13, vcc_lo, v39, v10
	v_add_co_ci_u32_e64 v14, null, v40, v11, vcc_lo
	s_clause 0x1
	global_load_dwordx2 v[10:11], v[6:7], off offset:8
	global_load_dwordx2 v[13:14], v[13:14], off offset:8
	s_waitcnt vmcnt(1)
	v_cmp_ngt_f32_e64 s5, |v10|, |v11|
	s_and_saveexec_b32 s58, s5
	s_xor_b32 s58, exec_lo, s58
	s_cbranch_execz .LBB6_196
; %bb.195:                              ;   in Loop: Header=BB6_6 Depth=1
	v_div_scale_f32 v15, null, v11, v11, v10
	v_div_scale_f32 v18, vcc_lo, v10, v11, v10
	v_rcp_f32_e32 v16, v15
	v_fma_f32 v17, -v15, v16, 1.0
	v_fmac_f32_e32 v16, v17, v16
	v_mul_f32_e32 v17, v18, v16
	v_fma_f32 v19, -v15, v17, v18
	v_fmac_f32_e32 v17, v19, v16
	v_fma_f32 v15, -v15, v17, v18
	v_div_fmas_f32 v15, v15, v16, v17
	v_div_fixup_f32 v15, v15, v11, v10
	v_fma_f32 v16, v10, v15, v11
	v_div_scale_f32 v17, null, v16, v16, 1.0
	v_div_scale_f32 v20, vcc_lo, 1.0, v16, 1.0
	v_rcp_f32_e32 v18, v17
	v_fma_f32 v19, -v17, v18, 1.0
	v_fmac_f32_e32 v18, v19, v18
	v_mul_f32_e32 v19, v20, v18
	v_fma_f32 v21, -v17, v19, v20
	v_fmac_f32_e32 v19, v21, v18
	v_fma_f32 v17, -v17, v19, v20
	v_div_fmas_f32 v17, v17, v18, v19
	s_waitcnt vmcnt(0)
	v_fma_f32 v18, v15, v13, v14
	v_fma_f32 v13, v15, v14, -v13
	v_div_fixup_f32 v16, v17, v16, 1.0
	v_mul_f32_e32 v19, v16, v18
	v_mul_f32_e32 v20, v16, v13
                                        ; implicit-def: $vgpr13_vgpr14
.LBB6_196:                              ;   in Loop: Header=BB6_6 Depth=1
	s_andn2_saveexec_b32 s58, s58
	s_cbranch_execz .LBB6_198
; %bb.197:                              ;   in Loop: Header=BB6_6 Depth=1
	v_div_scale_f32 v15, null, v10, v10, v11
	v_div_scale_f32 v18, vcc_lo, v11, v10, v11
	v_rcp_f32_e32 v16, v15
	v_fma_f32 v17, -v15, v16, 1.0
	v_fmac_f32_e32 v16, v17, v16
	v_mul_f32_e32 v17, v18, v16
	v_fma_f32 v19, -v15, v17, v18
	v_fmac_f32_e32 v17, v19, v16
	v_fma_f32 v15, -v15, v17, v18
	v_div_fmas_f32 v15, v15, v16, v17
	v_div_fixup_f32 v15, v15, v10, v11
	v_fma_f32 v16, v11, v15, v10
	v_div_scale_f32 v17, null, v16, v16, 1.0
	v_div_scale_f32 v20, vcc_lo, 1.0, v16, 1.0
	v_rcp_f32_e32 v18, v17
	v_fma_f32 v19, -v17, v18, 1.0
	v_fmac_f32_e32 v18, v19, v18
	v_mul_f32_e32 v19, v20, v18
	v_fma_f32 v21, -v17, v19, v20
	v_fmac_f32_e32 v19, v21, v18
	v_fma_f32 v17, -v17, v19, v20
	v_div_fmas_f32 v17, v17, v18, v19
	s_waitcnt vmcnt(0)
	v_fma_f32 v18, v15, v14, v13
	v_fma_f32 v13, -v15, v13, v14
	v_div_fixup_f32 v16, v17, v16, 1.0
	v_mul_f32_e32 v19, v16, v18
	v_mul_f32_e32 v20, v16, v13
.LBB6_198:                              ;   in Loop: Header=BB6_6 Depth=1
	s_or_b32 exec_lo, exec_lo, s58
	global_load_dwordx2 v[13:14], v[6:7], off
                                        ; implicit-def: $vgpr21
                                        ; implicit-def: $vgpr22
	s_and_saveexec_b32 s58, s5
	s_xor_b32 s5, exec_lo, s58
	s_cbranch_execz .LBB6_200
; %bb.199:                              ;   in Loop: Header=BB6_6 Depth=1
	v_div_scale_f32 v15, null, v11, v11, v10
	v_div_scale_f32 v18, vcc_lo, v10, v11, v10
	v_rcp_f32_e32 v16, v15
	v_fma_f32 v17, -v15, v16, 1.0
	v_fmac_f32_e32 v16, v17, v16
	v_mul_f32_e32 v17, v18, v16
	v_fma_f32 v21, -v15, v17, v18
	v_fmac_f32_e32 v17, v21, v16
	v_fma_f32 v15, -v15, v17, v18
	v_div_fmas_f32 v15, v15, v16, v17
	v_div_fixup_f32 v15, v15, v11, v10
	v_fma_f32 v16, v10, v15, v11
	v_div_scale_f32 v17, null, v16, v16, 1.0
	v_div_scale_f32 v22, vcc_lo, 1.0, v16, 1.0
	v_rcp_f32_e32 v18, v17
	v_fma_f32 v21, -v17, v18, 1.0
	v_fmac_f32_e32 v18, v21, v18
	v_mul_f32_e32 v21, v22, v18
	v_fma_f32 v38, -v17, v21, v22
	v_fmac_f32_e32 v21, v38, v18
	v_fma_f32 v17, -v17, v21, v22
	v_div_fmas_f32 v17, v17, v18, v21
	s_waitcnt vmcnt(0)
	v_fma_f32 v18, v15, v13, v14
	v_fma_f32 v13, v15, v14, -v13
	v_div_fixup_f32 v16, v17, v16, 1.0
	v_mul_f32_e32 v21, v16, v18
	v_mul_f32_e32 v22, v16, v13
                                        ; implicit-def: $vgpr13_vgpr14
.LBB6_200:                              ;   in Loop: Header=BB6_6 Depth=1
	s_andn2_saveexec_b32 s5, s5
	s_cbranch_execz .LBB6_202
; %bb.201:                              ;   in Loop: Header=BB6_6 Depth=1
	v_div_scale_f32 v15, null, v10, v10, v11
	v_div_scale_f32 v18, vcc_lo, v11, v10, v11
	v_rcp_f32_e32 v16, v15
	v_fma_f32 v17, -v15, v16, 1.0
	v_fmac_f32_e32 v16, v17, v16
	v_mul_f32_e32 v17, v18, v16
	v_fma_f32 v21, -v15, v17, v18
	v_fmac_f32_e32 v17, v21, v16
	v_fma_f32 v15, -v15, v17, v18
	v_div_fmas_f32 v15, v15, v16, v17
	v_div_fixup_f32 v15, v15, v10, v11
	v_fma_f32 v16, v11, v15, v10
	v_div_scale_f32 v17, null, v16, v16, 1.0
	v_div_scale_f32 v22, vcc_lo, 1.0, v16, 1.0
	v_rcp_f32_e32 v18, v17
	v_fma_f32 v21, -v17, v18, 1.0
	v_fmac_f32_e32 v18, v21, v18
	v_mul_f32_e32 v21, v22, v18
	v_fma_f32 v38, -v17, v21, v22
	v_fmac_f32_e32 v21, v38, v18
	v_fma_f32 v17, -v17, v21, v22
	v_div_fmas_f32 v17, v17, v18, v21
	s_waitcnt vmcnt(0)
	v_fma_f32 v18, v15, v14, v13
	v_fma_f32 v13, -v15, v13, v14
	v_div_fixup_f32 v16, v17, v16, 1.0
	v_mul_f32_e32 v21, v16, v18
	v_mul_f32_e32 v22, v16, v13
.LBB6_202:                              ;   in Loop: Header=BB6_6 Depth=1
	s_or_b32 exec_lo, exec_lo, s5
	s_waitcnt vmcnt(0)
	v_mul_f32_e32 v13, v20, v22
	v_mul_f32_e32 v14, v20, v21
                                        ; implicit-def: $vgpr38
                                        ; implicit-def: $vgpr39
	v_fma_f32 v13, v19, v21, -v13
	v_fmac_f32_e32 v14, v19, v22
	v_add_f32_e32 v15, -1.0, v13
	v_mul_f32_e32 v16, v11, v14
	v_mul_f32_e32 v13, v11, v15
	v_fma_f32 v11, v10, v15, -v16
	v_fmac_f32_e32 v13, v10, v14
	v_cmp_ngt_f32_e64 s5, |v11|, |v13|
	s_and_saveexec_b32 s58, s5
	s_xor_b32 s5, exec_lo, s58
	s_cbranch_execz .LBB6_204
; %bb.203:                              ;   in Loop: Header=BB6_6 Depth=1
	v_div_scale_f32 v10, null, v13, v13, v11
	v_div_scale_f32 v16, vcc_lo, v11, v13, v11
	v_rcp_f32_e32 v14, v10
	v_fma_f32 v15, -v10, v14, 1.0
	v_fmac_f32_e32 v14, v15, v14
	v_mul_f32_e32 v15, v16, v14
	v_fma_f32 v17, -v10, v15, v16
	v_fmac_f32_e32 v15, v17, v14
	v_fma_f32 v10, -v10, v15, v16
	v_div_fmas_f32 v10, v10, v14, v15
	v_div_fixup_f32 v10, v10, v13, v11
	v_fmac_f32_e32 v13, v11, v10
	v_div_scale_f32 v11, null, v13, v13, 1.0
	v_div_scale_f32 v16, vcc_lo, 1.0, v13, 1.0
	v_rcp_f32_e32 v14, v11
	v_fma_f32 v15, -v11, v14, 1.0
	v_fmac_f32_e32 v14, v15, v14
	v_mul_f32_e32 v15, v16, v14
	v_fma_f32 v17, -v11, v15, v16
	v_fmac_f32_e32 v15, v17, v14
	v_fma_f32 v11, -v11, v15, v16
	v_div_fmas_f32 v11, v11, v14, v15
	v_add_f32_e32 v14, 0, v10
	v_fma_f32 v10, v10, 0, -1.0
	v_div_fixup_f32 v11, v11, v13, 1.0
                                        ; implicit-def: $vgpr13
	v_mul_f32_e32 v38, v14, v11
	v_mul_f32_e32 v39, v10, v11
                                        ; implicit-def: $vgpr11
.LBB6_204:                              ;   in Loop: Header=BB6_6 Depth=1
	s_andn2_saveexec_b32 s5, s5
	s_cbranch_execz .LBB6_206
; %bb.205:                              ;   in Loop: Header=BB6_6 Depth=1
	v_div_scale_f32 v10, null, v11, v11, v13
	v_div_scale_f32 v16, vcc_lo, v13, v11, v13
	v_rcp_f32_e32 v14, v10
	v_fma_f32 v15, -v10, v14, 1.0
	v_fmac_f32_e32 v14, v15, v14
	v_mul_f32_e32 v15, v16, v14
	v_fma_f32 v17, -v10, v15, v16
	v_fmac_f32_e32 v15, v17, v14
	v_fma_f32 v10, -v10, v15, v16
	v_div_fmas_f32 v10, v10, v14, v15
	v_div_fixup_f32 v10, v10, v11, v13
	v_fmac_f32_e32 v11, v13, v10
	v_div_scale_f32 v13, null, v11, v11, 1.0
	v_div_scale_f32 v16, vcc_lo, 1.0, v11, 1.0
	v_rcp_f32_e32 v14, v13
	v_fma_f32 v15, -v13, v14, 1.0
	v_fmac_f32_e32 v14, v15, v14
	v_mul_f32_e32 v15, v16, v14
	v_fma_f32 v17, -v13, v15, v16
	v_fmac_f32_e32 v15, v17, v14
	v_fma_f32 v13, -v13, v15, v16
	v_div_fmas_f32 v13, v13, v14, v15
	v_fma_f32 v14, v10, 0, 1.0
	v_div_fixup_f32 v11, v13, v11, 1.0
	v_mul_f32_e32 v38, v14, v11
	v_mul_f32_e64 v39, -v10, v11
.LBB6_206:                              ;   in Loop: Header=BB6_6 Depth=1
	s_or_b32 exec_lo, exec_lo, s5
	v_add_nc_u32_e32 v40, v1, v3
	v_cmp_gt_i32_e32 vcc_lo, s22, v40
	s_and_b32 exec_lo, exec_lo, vcc_lo
	s_cbranch_execz .LBB6_209
; %bb.207:                              ;   in Loop: Header=BB6_6 Depth=1
	v_mul_lo_u32 v41, s45, v1
	v_mad_u64_u32 v[10:11], null, s47, v1, v[3:4]
	v_add_nc_u32_e32 v4, v40, v4
	s_mov_b32 s58, 0
	v_lshlrev_b64 v[17:18], 3, v[4:5]
	v_add_nc_u32_e32 v13, v3, v41
	v_ashrrev_i32_e32 v11, 31, v10
	v_ashrrev_i32_e32 v14, 31, v13
	v_lshlrev_b64 v[15:16], 3, v[10:11]
	v_add_nc_u32_e32 v10, v36, v41
	v_lshlrev_b64 v[41:42], 3, v[13:14]
	v_add_co_u32 v13, vcc_lo, s52, v15
	v_add_co_ci_u32_e64 v14, null, s53, v16, vcc_lo
	v_add_co_u32 v15, vcc_lo, s54, v41
	v_add_co_ci_u32_e64 v16, null, s55, v42, vcc_lo
	;; [unrolled: 2-line block ×3, first 2 shown]
.LBB6_208:                              ;   Parent Loop BB6_6 Depth=1
                                        ; =>  This Inner Loop Header: Depth=2
	global_load_dwordx2 v[41:42], v[13:14], off offset:-4
	global_load_dwordx2 v[43:44], v[17:18], off offset:-4
	v_add_nc_u32_e32 v40, 0x100, v40
	v_cmp_le_i32_e32 vcc_lo, s22, v40
	s_or_b32 s58, vcc_lo, s58
	s_waitcnt vmcnt(1)
	v_mul_f32_e32 v4, v19, v42
	v_mul_f32_e32 v11, v20, v42
	v_fmac_f32_e32 v4, v20, v41
	v_fma_f32 v11, v19, v41, -v11
	s_waitcnt vmcnt(0)
	v_sub_f32_e32 v4, v4, v44
	v_sub_f32_e32 v11, v11, v43
	v_mul_f32_e32 v41, v39, v4
	v_mul_f32_e32 v42, v39, v11
	v_fma_f32 v41, v38, v11, -v41
	v_fmac_f32_e32 v42, v38, v4
	v_ashrrev_i32_e32 v11, 31, v10
	global_store_dwordx2 v[15:16], v[41:42], off offset:-4
	global_load_dwordx2 v[41:42], v[17:18], off offset:-4
	global_load_dwordx2 v[43:44], v[13:14], off offset:-4
	v_lshlrev_b64 v[45:46], 3, v[10:11]
	v_add_nc_u32_e32 v10, 0x100, v10
	v_add_co_u32 v45, s5, s20, v45
	v_add_co_ci_u32_e64 v46, null, s33, v46, s5
	v_add_co_u32 v15, s5, 0x800, v15
	v_add_co_ci_u32_e64 v16, null, 0, v16, s5
	;; [unrolled: 2-line block ×4, first 2 shown]
	s_waitcnt vmcnt(1)
	v_mul_f32_e32 v4, v21, v42
	v_mul_f32_e32 v11, v22, v42
	v_fmac_f32_e32 v4, v22, v41
	v_fma_f32 v11, v21, v41, -v11
	s_waitcnt vmcnt(0)
	v_sub_f32_e32 v4, v4, v44
	v_sub_f32_e32 v11, v11, v43
	v_mul_f32_e32 v41, v39, v4
	v_mul_f32_e32 v42, v39, v11
	v_fma_f32 v41, v38, v11, -v41
	v_fmac_f32_e32 v42, v38, v4
	global_store_dwordx2 v[45:46], v[41:42], off
	s_andn2_b32 exec_lo, exec_lo, s58
	s_cbranch_execnz .LBB6_208
.LBB6_209:                              ;   in Loop: Header=BB6_6 Depth=1
	s_or_b32 exec_lo, exec_lo, s7
	s_and_saveexec_b32 s5, s0
	s_cbranch_execz .LBB6_211
; %bb.210:                              ;   in Loop: Header=BB6_6 Depth=1
	global_load_dwordx2 v[10:11], v[6:7], off
	v_mul_lo_u32 v13, v1, s21
	v_add_co_u32 v4, vcc_lo, s20, v8
	v_add_co_ci_u32_e64 v9, null, s33, v9, vcc_lo
	v_ashrrev_i32_e32 v14, 31, v13
	v_lshlrev_b64 v[13:14], 3, v[13:14]
	v_add_co_u32 v8, vcc_lo, v4, v13
	v_add_co_ci_u32_e64 v9, null, v9, v14, vcc_lo
	s_waitcnt vmcnt(0)
	global_store_dwordx2 v[8:9], v[10:11], off
	global_load_dwordx2 v[6:7], v[6:7], off offset:8
	v_mul_lo_u32 v10, v37, s47
	v_ashrrev_i32_e32 v11, 31, v10
	v_lshlrev_b64 v[10:11], 3, v[10:11]
	v_add_co_u32 v10, vcc_lo, s8, v10
	v_add_co_ci_u32_e64 v11, null, s9, v11, vcc_lo
	s_waitcnt vmcnt(0)
	global_store_dwordx2 v[8:9], v[6:7], off offset:8
	global_load_dwordx2 v[6:7], v[10:11], off
	v_mul_lo_u32 v8, v37, s45
	v_ashrrev_i32_e32 v9, 31, v8
	v_lshlrev_b64 v[8:9], 3, v[8:9]
	v_add_co_u32 v8, vcc_lo, s20, v8
	v_add_co_ci_u32_e64 v9, null, s33, v9, vcc_lo
	s_waitcnt vmcnt(0)
	global_store_dwordx2 v[8:9], v[6:7], off
.LBB6_211:                              ;   in Loop: Header=BB6_6 Depth=1
	s_or_b32 exec_lo, exec_lo, s5
	s_waitcnt_vscnt null, 0x0
	s_barrier
	buffer_gl0_inv
                                        ; implicit-def: $vgpr6_vgpr7
                                        ; implicit-def: $vgpr10_vgpr11
                                        ; implicit-def: $vgpr38
.LBB6_212:                              ;   in Loop: Header=BB6_6 Depth=1
	s_or_saveexec_b32 s6, s6
	v_mov_b32_e32 v4, 2
	s_mov_b32 s5, 0
	s_mov_b32 s7, 0
	s_xor_b32 exec_lo, exec_lo, s6
	s_cbranch_execz .LBB6_223
; %bb.213:                              ;   in Loop: Header=BB6_6 Depth=1
	global_load_dwordx2 v[8:9], v[6:7], off
                                        ; implicit-def: $vgpr4
                                        ; implicit-def: $vgpr13
	s_waitcnt vmcnt(0)
	v_cmp_ngt_f32_e64 s7, |v8|, |v9|
	s_and_saveexec_b32 s58, s7
	s_xor_b32 s7, exec_lo, s58
	s_cbranch_execnz .LBB6_217
; %bb.214:                              ;   in Loop: Header=BB6_6 Depth=1
	s_andn2_saveexec_b32 s7, s7
	s_cbranch_execnz .LBB6_218
.LBB6_215:                              ;   in Loop: Header=BB6_6 Depth=1
	s_or_b32 exec_lo, exec_lo, s7
	s_and_saveexec_b32 s7, s0
	s_cbranch_execnz .LBB6_219
.LBB6_216:                              ;   in Loop: Header=BB6_6 Depth=1
	s_or_b32 exec_lo, exec_lo, s7
	s_and_saveexec_b32 s7, s4
	s_cbranch_execnz .LBB6_220
	s_branch .LBB6_222
.LBB6_217:                              ;   in Loop: Header=BB6_6 Depth=1
	v_div_scale_f32 v4, null, v9, v9, v8
	v_div_scale_f32 v15, vcc_lo, v8, v9, v8
	v_rcp_f32_e32 v13, v4
	v_fma_f32 v14, -v4, v13, 1.0
	v_fmac_f32_e32 v13, v14, v13
	v_mul_f32_e32 v14, v15, v13
	v_fma_f32 v16, -v4, v14, v15
	v_fmac_f32_e32 v14, v16, v13
	v_fma_f32 v4, -v4, v14, v15
	v_div_fmas_f32 v4, v4, v13, v14
	v_div_fixup_f32 v4, v4, v9, v8
	v_fmac_f32_e32 v9, v8, v4
	v_div_scale_f32 v8, null, v9, v9, 1.0
	v_div_scale_f32 v15, vcc_lo, 1.0, v9, 1.0
	v_rcp_f32_e32 v13, v8
	v_fma_f32 v14, -v8, v13, 1.0
	v_fmac_f32_e32 v13, v14, v13
	v_mul_f32_e32 v14, v15, v13
	v_fma_f32 v16, -v8, v14, v15
	v_fmac_f32_e32 v14, v16, v13
	v_fma_f32 v8, -v8, v14, v15
	v_div_fmas_f32 v8, v8, v13, v14
	v_add_f32_e32 v13, 0, v4
	v_div_fixup_f32 v8, v8, v9, 1.0
	v_fma_f32 v9, v4, 0, -1.0
	v_mul_f32_e32 v4, v13, v8
	v_mul_f32_e32 v13, v9, v8
                                        ; implicit-def: $vgpr8_vgpr9
	s_andn2_saveexec_b32 s7, s7
	s_cbranch_execz .LBB6_215
.LBB6_218:                              ;   in Loop: Header=BB6_6 Depth=1
	v_div_scale_f32 v4, null, v8, v8, v9
	v_div_scale_f32 v15, vcc_lo, v9, v8, v9
	v_rcp_f32_e32 v13, v4
	v_fma_f32 v14, -v4, v13, 1.0
	v_fmac_f32_e32 v13, v14, v13
	v_mul_f32_e32 v14, v15, v13
	v_fma_f32 v16, -v4, v14, v15
	v_fmac_f32_e32 v14, v16, v13
	v_fma_f32 v4, -v4, v14, v15
	v_div_fmas_f32 v4, v4, v13, v14
	v_div_fixup_f32 v13, v4, v8, v9
	v_fmac_f32_e32 v8, v9, v13
	v_div_scale_f32 v4, null, v8, v8, 1.0
	v_div_scale_f32 v15, vcc_lo, 1.0, v8, 1.0
	v_rcp_f32_e32 v9, v4
	v_fma_f32 v14, -v4, v9, 1.0
	v_fmac_f32_e32 v9, v14, v9
	v_mul_f32_e32 v14, v15, v9
	v_fma_f32 v16, -v4, v14, v15
	v_fmac_f32_e32 v14, v16, v9
	v_fma_f32 v4, -v4, v14, v15
	v_div_fmas_f32 v4, v4, v9, v14
	v_fma_f32 v9, v13, 0, 1.0
	v_div_fixup_f32 v8, v4, v8, 1.0
	v_mul_f32_e32 v4, v9, v8
	v_mul_f32_e64 v13, -v13, v8
	s_or_b32 exec_lo, exec_lo, s7
	s_and_saveexec_b32 s7, s0
	s_cbranch_execz .LBB6_216
.LBB6_219:                              ;   in Loop: Header=BB6_6 Depth=1
	global_load_dwordx2 v[6:7], v[6:7], off
	v_mul_lo_u32 v8, v1, s45
	v_ashrrev_i32_e32 v9, 31, v8
	v_lshlrev_b64 v[8:9], 3, v[8:9]
	v_add_co_u32 v8, vcc_lo, s20, v8
	v_add_co_ci_u32_e64 v9, null, s33, v9, vcc_lo
	s_waitcnt vmcnt(0)
	global_store_dwordx2 v[8:9], v[6:7], off
	s_or_b32 exec_lo, exec_lo, s7
	s_and_saveexec_b32 s7, s4
	s_cbranch_execz .LBB6_222
.LBB6_220:                              ;   in Loop: Header=BB6_6 Depth=1
	v_mul_lo_u32 v6, v1, s21
	v_mov_b32_e32 v8, v0
	s_mov_b32 s58, 0
	v_ashrrev_i32_e32 v7, 31, v6
	s_inst_prefetch 0x1
	.p2align	6
.LBB6_221:                              ;   Parent Loop BB6_6 Depth=1
                                        ; =>  This Inner Loop Header: Depth=2
	v_add_nc_u32_e32 v9, v1, v8
	v_add_nc_u32_e32 v8, 0x100, v8
	v_add_co_u32 v14, vcc_lo, v9, v10
	v_add_co_ci_u32_e64 v15, null, 0, v11, vcc_lo
	v_lshlrev_b64 v[14:15], 3, v[14:15]
	v_add_co_u32 v14, vcc_lo, s8, v14
	v_add_co_ci_u32_e64 v15, null, s9, v15, vcc_lo
	v_add_co_u32 v16, vcc_lo, v9, v6
	v_add_co_ci_u32_e64 v17, null, 0, v7, vcc_lo
	global_load_dwordx2 v[14:15], v[14:15], off offset:8
	v_cmp_ge_i32_e32 vcc_lo, v8, v38
	v_lshlrev_b64 v[16:17], 3, v[16:17]
	s_or_b32 s58, vcc_lo, s58
	s_waitcnt vmcnt(0)
	v_mul_f32_e32 v9, v13, v15
	v_mul_f32_e32 v18, v4, v15
	v_add_co_u32 v15, s4, s20, v16
	v_add_co_ci_u32_e64 v16, null, s33, v17, s4
	v_fma_f32 v17, v4, v14, -v9
	v_fmac_f32_e32 v18, v13, v14
	global_store_dwordx2 v[15:16], v[17:18], off offset:8
	s_andn2_b32 exec_lo, exec_lo, s58
	s_cbranch_execnz .LBB6_221
.LBB6_222:                              ;   in Loop: Header=BB6_6 Depth=1
	s_inst_prefetch 0x2
	s_or_b32 exec_lo, exec_lo, s7
	v_mov_b32_e32 v4, 1
	s_mov_b32 s7, exec_lo
	s_waitcnt_vscnt null, 0x0
	s_barrier
	buffer_gl0_inv
.LBB6_223:                              ;   in Loop: Header=BB6_6 Depth=1
	s_or_b32 exec_lo, exec_lo, s6
	s_and_b32 vcc_lo, exec_lo, s5
	s_cbranch_vccz .LBB6_227
.LBB6_224:                              ;   in Loop: Header=BB6_6 Depth=1
	ds_read_b32 v4, v5 offset:2052
	s_waitcnt lgkmcnt(0)
	v_readfirstlane_b32 s4, v4
	s_cmp_eq_u32 s4, 0
	s_cselect_b32 s4, -1, 0
	s_and_b32 s5, s0, s4
	s_and_saveexec_b32 s4, s5
; %bb.225:                              ;   in Loop: Header=BB6_6 Depth=1
	ds_write_b32 v5, v37 offset:2052
; %bb.226:                              ;   in Loop: Header=BB6_6 Depth=1
	s_or_b32 exec_lo, exec_lo, s4
	v_mov_b32_e32 v4, 1
	v_mov_b32_e32 v12, v1
	s_mov_b32 s7, -1
.LBB6_227:                              ;   in Loop: Header=BB6_6 Depth=1
	s_and_saveexec_b32 s4, s0
	s_cbranch_execz .LBB6_4
; %bb.228:                              ;   in Loop: Header=BB6_6 Depth=1
	v_lshlrev_b64 v[6:7], 2, v[1:2]
	s_xor_b32 s5, s7, -1
	v_add_co_u32 v6, vcc_lo, s40, v6
	v_add_co_ci_u32_e64 v7, null, s41, v7, vcc_lo
	s_and_saveexec_b32 s6, s5
	s_xor_b32 s5, exec_lo, s6
	s_cbranch_execz .LBB6_230
; %bb.229:                              ;   in Loop: Header=BB6_6 Depth=1
	v_not_b32_e32 v8, v12
                                        ; implicit-def: $vgpr12
	v_mov_b32_e32 v9, v8
	global_store_dwordx2 v[6:7], v[8:9], off
                                        ; implicit-def: $vgpr6_vgpr7
.LBB6_230:                              ;   in Loop: Header=BB6_6 Depth=1
	s_andn2_saveexec_b32 s5, s5
	s_cbranch_execz .LBB6_4
; %bb.231:                              ;   in Loop: Header=BB6_6 Depth=1
	v_add_nc_u32_e32 v2, 1, v12
	global_store_dword v[6:7], v2, off
	s_branch .LBB6_4
.LBB6_232:
	s_or_b32 exec_lo, exec_lo, s11
	s_and_saveexec_b32 s1, s0
	s_cbranch_execz .LBB6_234
.LBB6_233:
	v_mov_b32_e32 v2, 0
	s_lshl_b64 s[2:3], s[26:27], 2
	s_add_u32 s4, s16, s2
	s_addc_u32 s5, s17, s3
	ds_read_b32 v3, v2 offset:2052
	s_add_u32 s2, s14, s2
	s_addc_u32 s3, s15, s3
	global_store_dword v2, v1, s[4:5]
	s_waitcnt lgkmcnt(0)
	global_store_dword v2, v3, s[2:3]
.LBB6_234:
	s_or_b32 exec_lo, exec_lo, s1
	s_mov_b32 s10, exec_lo
	v_cmpx_gt_i32_e64 s22, v1
	s_cbranch_execz .LBB6_255
; %bb.235:
	v_ashrrev_i32_e32 v2, 31, v1
	s_add_u32 s0, s24, s34
	s_addc_u32 s4, s25, s35
	s_mov_b32 s2, s23
	s_ashr_i32 s3, s23, 31
	v_lshlrev_b64 v[2:3], 3, v[1:2]
	s_ashr_i32 s1, s22, 31
	s_lshl_b64 s[2:3], s[2:3], 3
	v_mov_b32_e32 v8, v1
	s_mov_b32 s11, 0
	v_cmp_ne_u32_e32 vcc_lo, 0, v1
	v_add_co_u32 v4, s0, s0, v2
	v_add_co_ci_u32_e64 v5, null, s4, v3, s0
	s_mov_b32 s0, s22
	s_lshl_b64 s[4:5], s[0:1], 3
	s_add_u32 s0, s28, s30
	s_addc_u32 s1, s29, s31
	v_add_co_u32 v6, s0, s0, v2
	v_add_co_ci_u32_e64 v7, null, s1, v3, s0
	v_add_co_u32 v2, s0, v4, 4
	v_add_co_ci_u32_e64 v3, null, 0, v5, s0
	v_add_co_u32 v4, s0, v6, v24
	v_add_co_ci_u32_e64 v7, null, 0, v7, s0
	v_mov_b32_e32 v5, 0
	v_add_co_u32 v6, s0, s18, v4
	v_add_co_ci_u32_e64 v7, null, s19, v7, s0
	s_ashr_i32 s1, s21, 31
	s_mov_b32 s0, s21
	s_lshl_b64 s[6:7], s[0:1], 3
	s_branch .LBB6_237
.LBB6_236:                              ;   in Loop: Header=BB6_237 Depth=1
	s_or_b32 exec_lo, exec_lo, s1
	v_add_nc_u32_e32 v8, s23, v8
	v_add_co_u32 v2, s0, v2, s2
	v_add_co_ci_u32_e64 v3, null, s3, v3, s0
	v_cmp_le_i32_e64 s0, s22, v8
	v_add_co_u32 v6, s1, v6, s2
	v_add_co_ci_u32_e64 v7, null, s3, v7, s1
	s_or_b32 s11, s0, s11
	s_andn2_b32 exec_lo, exec_lo, s11
	s_cbranch_execz .LBB6_255
.LBB6_237:                              ; =>This Loop Header: Depth=1
                                        ;     Child Loop BB6_240 Depth 2
                                        ;       Child Loop BB6_243 Depth 3
                                        ;         Child Loop BB6_245 Depth 4
                                        ;     Child Loop BB6_251 Depth 2
                                        ;       Child Loop BB6_253 Depth 3
	v_sub_nc_u32_e32 v9, s22, v8
	s_mov_b32 s12, exec_lo
	v_min_i32_e32 v22, s23, v9
	v_add_nc_u32_e32 v10, v22, v8
	v_cmpx_lt_i32_e32 0, v22
	s_cbranch_execz .LBB6_247
; %bb.238:                              ;   in Loop: Header=BB6_237 Depth=1
	v_mov_b32_e32 v12, v7
	v_mov_b32_e32 v14, v3
	;; [unrolled: 1-line block ×5, first 2 shown]
	s_mov_b32 s13, 0
	s_branch .LBB6_240
.LBB6_239:                              ;   in Loop: Header=BB6_240 Depth=2
	s_or_b32 exec_lo, exec_lo, s14
	v_add_nc_u32_e32 v15, 1, v15
	v_add_co_u32 v13, s0, v13, 8
	v_add_co_ci_u32_e64 v14, null, 0, v14, s0
	v_cmp_ge_i32_e64 s0, v15, v10
	v_add_co_u32 v11, s1, v11, 8
	v_add_co_ci_u32_e64 v12, null, 0, v12, s1
	s_or_b32 s13, s0, s13
	s_andn2_b32 exec_lo, exec_lo, s13
	s_cbranch_execz .LBB6_247
.LBB6_240:                              ;   Parent Loop BB6_237 Depth=1
                                        ; =>  This Loop Header: Depth=2
                                        ;       Child Loop BB6_243 Depth 3
                                        ;         Child Loop BB6_245 Depth 4
	v_sub_nc_u32_e32 v24, v10, v15
	s_mov_b32 s14, exec_lo
	v_cmpx_lt_i32_e64 v0, v24
	s_cbranch_execz .LBB6_239
; %bb.241:                              ;   in Loop: Header=BB6_240 Depth=2
	v_mul_lo_u32 v17, v15, s21
	v_ashrrev_i32_e32 v16, 31, v15
	s_mov_b32 s15, 0
	v_lshlrev_b64 v[19:20], 3, v[15:16]
	v_ashrrev_i32_e32 v18, 31, v17
	v_add_co_u32 v4, s0, s20, v19
	v_lshlrev_b64 v[25:26], 3, v[17:18]
	v_add_co_ci_u32_e64 v18, null, s33, v20, s0
	v_mov_b32_e32 v17, v12
	v_mov_b32_e32 v16, v11
	v_add_co_u32 v25, s0, v4, v25
	v_add_co_ci_u32_e64 v26, null, v18, v26, s0
	v_mov_b32_e32 v4, v0
	s_branch .LBB6_243
.LBB6_242:                              ;   in Loop: Header=BB6_243 Depth=3
	s_or_b32 exec_lo, exec_lo, s16
	v_lshlrev_b64 v[18:19], 3, v[4:5]
	v_add_nc_u32_e32 v4, 0x100, v4
	v_fma_f32 v29, 0x80000000, v27, -v28
	v_fma_f32 v27, v28, 0, -v27
	v_add_co_u32 v16, s1, 0x800, v16
	v_add_co_u32 v18, s0, v25, v18
	v_add_co_ci_u32_e64 v19, null, v26, v19, s0
	v_cmp_ge_i32_e64 s0, v4, v24
	v_add_co_ci_u32_e64 v17, null, 0, v17, s1
	global_load_dwordx2 v[20:21], v[18:19], off
	s_or_b32 s15, s0, s15
	s_waitcnt vmcnt(0)
	v_fmamk_f32 v28, v21, 0x80000000, v20
	v_fmac_f32_e32 v21, 0, v20
	v_add_f32_e32 v20, v29, v28
	v_add_f32_e32 v21, v27, v21
	global_store_dwordx2 v[18:19], v[20:21], off
	s_andn2_b32 exec_lo, exec_lo, s15
	s_cbranch_execz .LBB6_239
.LBB6_243:                              ;   Parent Loop BB6_237 Depth=1
                                        ;     Parent Loop BB6_240 Depth=2
                                        ; =>    This Loop Header: Depth=3
                                        ;         Child Loop BB6_245 Depth 4
	v_mov_b32_e32 v27, 0
	v_mov_b32_e32 v28, 0
	s_and_saveexec_b32 s16, vcc_lo
	s_cbranch_execz .LBB6_242
; %bb.244:                              ;   in Loop: Header=BB6_243 Depth=3
	v_mov_b32_e32 v19, v17
	v_mov_b32_e32 v21, v14
	;; [unrolled: 1-line block ×7, first 2 shown]
	s_mov_b32 s17, 0
	.p2align	6
.LBB6_245:                              ;   Parent Loop BB6_237 Depth=1
                                        ;     Parent Loop BB6_240 Depth=2
                                        ;       Parent Loop BB6_243 Depth=3
                                        ; =>      This Inner Loop Header: Depth=4
	global_load_dwordx2 v[30:31], v[18:19], off
	global_load_dwordx2 v[32:33], v[20:21], off offset:-4
	v_add_nc_u32_e32 v29, -1, v29
	v_add_co_u32 v20, s0, v20, s4
	v_add_co_ci_u32_e64 v21, null, s5, v21, s0
	v_add_co_u32 v18, s0, v18, s6
	v_cmp_eq_u32_e64 s1, 0, v29
	v_add_co_ci_u32_e64 v19, null, s7, v19, s0
	s_or_b32 s17, s1, s17
	s_waitcnt vmcnt(0)
	v_mul_f32_e32 v34, v33, v31
	v_mul_f32_e32 v31, v32, v31
	v_fma_f32 v32, v32, v30, -v34
	v_fmac_f32_e32 v31, v33, v30
	v_add_f32_e32 v28, v28, v32
	v_add_f32_e32 v27, v27, v31
	s_andn2_b32 exec_lo, exec_lo, s17
	s_cbranch_execnz .LBB6_245
; %bb.246:                              ;   in Loop: Header=BB6_243 Depth=3
	s_or_b32 exec_lo, exec_lo, s17
	s_branch .LBB6_242
.LBB6_247:                              ;   in Loop: Header=BB6_237 Depth=1
	s_or_b32 exec_lo, exec_lo, s12
	s_mov_b32 s1, exec_lo
	v_cmpx_gt_i32_e64 s22, v10
	s_cbranch_execz .LBB6_236
; %bb.248:                              ;   in Loop: Header=BB6_237 Depth=1
	v_sub_nc_u32_e32 v13, v9, v22
	v_mul_lo_u32 v14, v13, v22
	v_cmp_lt_i32_e64 s0, v0, v14
	s_and_b32 exec_lo, exec_lo, s0
	s_cbranch_execz .LBB6_236
; %bb.249:                              ;   in Loop: Header=BB6_237 Depth=1
	v_sub_nc_u32_e32 v4, 0, v13
	v_ashrrev_i32_e32 v11, 31, v10
	v_mul_lo_u32 v19, v8, s21
	v_ashrrev_i32_e32 v9, 31, v8
	v_ashrrev_i32_e32 v16, 31, v13
	v_max_i32_e32 v15, v13, v4
	v_lshlrev_b64 v[10:11], 3, v[10:11]
	v_mov_b32_e32 v25, v0
	v_lshlrev_b64 v[21:22], 3, v[8:9]
	s_mov_b32 s12, 0
	v_cvt_f32_u32_e32 v4, v15
	v_sub_nc_u32_e32 v12, 0, v15
	v_ashrrev_i32_e32 v20, 31, v19
	v_add_co_u32 v17, s0, s20, v10
	v_rcp_iflag_f32_e32 v4, v4
	v_add_co_ci_u32_e64 v18, null, s33, v11, s0
	v_lshlrev_b64 v[9:10], 3, v[19:20]
	v_add_co_u32 v19, s0, s8, v21
	v_add_co_ci_u32_e64 v20, null, s9, v22, s0
	v_add_co_u32 v21, s0, v17, v9
	v_mul_f32_e32 v4, 0x4f7ffffe, v4
	v_add_co_ci_u32_e64 v22, null, v18, v10, s0
	v_cvt_u32_f32_e32 v4, v4
	v_mul_lo_u32 v12, v12, v4
	v_mul_hi_u32 v11, v4, v12
	v_add_nc_u32_e32 v24, v4, v11
	s_branch .LBB6_251
.LBB6_250:                              ;   in Loop: Header=BB6_251 Depth=2
	s_or_b32 exec_lo, exec_lo, s13
	v_mad_u64_u32 v[9:10], null, v27, s21, v[4:5]
	v_add_nc_u32_e32 v25, 0x100, v25
	v_fma_f32 v4, 0x80000000, v26, -v28
	v_fma_f32 v26, v28, 0, -v26
	v_ashrrev_i32_e32 v10, 31, v9
	v_lshlrev_b64 v[9:10], 3, v[9:10]
	v_add_co_u32 v9, s0, v21, v9
	v_add_co_ci_u32_e64 v10, null, v22, v10, s0
	v_cmp_ge_i32_e64 s0, v25, v14
	global_load_dwordx2 v[11:12], v[9:10], off
	s_or_b32 s12, s0, s12
	s_waitcnt vmcnt(0)
	v_fmamk_f32 v27, v12, 0x80000000, v11
	v_fmac_f32_e32 v12, 0, v11
	v_add_f32_e32 v11, v4, v27
	v_add_f32_e32 v12, v26, v12
	global_store_dwordx2 v[9:10], v[11:12], off
	s_andn2_b32 exec_lo, exec_lo, s12
	s_cbranch_execz .LBB6_236
.LBB6_251:                              ;   Parent Loop BB6_237 Depth=1
                                        ; =>  This Loop Header: Depth=2
                                        ;       Child Loop BB6_253 Depth 3
	v_mul_hi_u32 v4, v25, v24
	v_mov_b32_e32 v26, 0
	v_mov_b32_e32 v28, 0
	v_mul_lo_u32 v9, v4, v15
	v_add_nc_u32_e32 v10, 1, v4
	v_sub_nc_u32_e32 v9, v25, v9
	v_sub_nc_u32_e32 v11, v9, v15
	v_cmp_ge_u32_e64 s0, v9, v15
	v_cndmask_b32_e64 v4, v4, v10, s0
	v_cndmask_b32_e64 v9, v9, v11, s0
	v_add_nc_u32_e32 v10, 1, v4
	v_cmp_ge_u32_e64 s0, v9, v15
	v_cndmask_b32_e64 v4, v4, v10, s0
	v_xor_b32_e32 v4, v4, v16
	v_sub_nc_u32_e32 v27, v4, v16
	v_mul_lo_u32 v4, v27, v13
	v_sub_nc_u32_e32 v4, v25, v4
	s_and_saveexec_b32 s13, vcc_lo
	s_cbranch_execz .LBB6_250
; %bb.252:                              ;   in Loop: Header=BB6_251 Depth=2
	v_mov_b32_e32 v26, 0
	v_mov_b32_e32 v9, v4
	;; [unrolled: 1-line block ×5, first 2 shown]
	s_mov_b32 s14, 0
	s_inst_prefetch 0x1
	.p2align	6
.LBB6_253:                              ;   Parent Loop BB6_237 Depth=1
                                        ;     Parent Loop BB6_251 Depth=2
                                        ; =>    This Inner Loop Header: Depth=3
	v_ashrrev_i32_e32 v10, 31, v9
	v_ashrrev_i32_e32 v12, 31, v11
	v_add_nc_u32_e32 v29, -1, v29
	v_lshlrev_b64 v[30:31], 3, v[9:10]
	v_lshlrev_b64 v[32:33], 3, v[11:12]
	v_add_nc_u32_e32 v11, s22, v11
	v_add_nc_u32_e32 v9, s21, v9
	v_add_co_u32 v30, s0, v17, v30
	v_add_co_ci_u32_e64 v31, null, v18, v31, s0
	v_add_co_u32 v32, s0, v19, v32
	v_add_co_ci_u32_e64 v33, null, v20, v33, s0
	global_load_dwordx2 v[30:31], v[30:31], off
	global_load_dwordx2 v[32:33], v[32:33], off
	v_cmp_eq_u32_e64 s0, 0, v29
	s_or_b32 s14, s0, s14
	s_waitcnt vmcnt(0)
	v_mul_f32_e32 v10, v33, v31
	v_mul_f32_e32 v12, v32, v31
	v_fma_f32 v10, v32, v30, -v10
	v_fmac_f32_e32 v12, v33, v30
	v_add_f32_e32 v28, v28, v10
	v_add_f32_e32 v26, v26, v12
	s_andn2_b32 exec_lo, exec_lo, s14
	s_cbranch_execnz .LBB6_253
; %bb.254:                              ;   in Loop: Header=BB6_251 Depth=2
	s_inst_prefetch 0x2
	s_or_b32 exec_lo, exec_lo, s14
	s_branch .LBB6_250
.LBB6_255:
	s_or_b32 exec_lo, exec_lo, s10
	s_waitcnt lgkmcnt(0)
	s_waitcnt_vscnt null, 0x0
	s_barrier
	buffer_gl0_inv
	s_mov_b32 s0, exec_lo
	v_cmpx_lt_i32_e32 1, v1
	s_cbranch_execz .LBB6_263
; %bb.256:
	v_mov_b32_e32 v3, 0
	s_lshl_b32 s1, s21, 8
	s_mov_b32 s2, 0
	s_branch .LBB6_259
.LBB6_257:                              ;   in Loop: Header=BB6_259 Depth=1
	s_inst_prefetch 0x2
	s_waitcnt_vscnt null, 0x0
	s_barrier
	buffer_gl0_inv
.LBB6_258:                              ;   in Loop: Header=BB6_259 Depth=1
	s_or_b32 exec_lo, exec_lo, s0
	v_cmp_gt_u32_e32 vcc_lo, 2, v4
	v_mov_b32_e32 v1, v4
	s_or_b32 s2, vcc_lo, s2
	s_andn2_b32 exec_lo, exec_lo, s2
	s_cbranch_execz .LBB6_263
.LBB6_259:                              ; =>This Loop Header: Depth=1
                                        ;     Child Loop BB6_262 Depth 2
	v_add_nc_u32_e32 v2, -1, v1
	v_add_nc_u32_e32 v6, -2, v1
	v_lshlrev_b64 v[4:5], 2, v[2:3]
	v_add_co_u32 v4, vcc_lo, s40, v4
	v_add_co_ci_u32_e64 v5, null, s41, v5, vcc_lo
	global_load_dword v4, v[4:5], off
	s_waitcnt vmcnt(0)
	v_not_b32_e32 v5, v4
	v_add_nc_u32_e32 v7, -1, v4
	v_cmp_gt_i32_e32 vcc_lo, 0, v4
	v_cndmask_b32_e32 v5, v7, v5, vcc_lo
	v_cndmask_b32_e32 v4, v2, v6, vcc_lo
	v_cmp_ne_u32_e32 vcc_lo, v5, v2
	v_cmp_ne_u32_e64 s0, 0, v4
	s_and_b32 s3, vcc_lo, s0
	s_and_saveexec_b32 s0, s3
	s_cbranch_execz .LBB6_258
; %bb.260:                              ;   in Loop: Header=BB6_259 Depth=1
	v_cmp_lt_i32_e32 vcc_lo, v0, v4
	s_and_b32 exec_lo, exec_lo, vcc_lo
	s_cbranch_execz .LBB6_257
; %bb.261:                              ;   in Loop: Header=BB6_259 Depth=1
	v_ashrrev_i32_e32 v2, 31, v1
	v_mov_b32_e32 v6, v23
	v_mov_b32_e32 v7, v0
	s_mov_b32 s3, 0
	s_inst_prefetch 0x1
	.p2align	6
.LBB6_262:                              ;   Parent Loop BB6_259 Depth=1
                                        ; =>  This Inner Loop Header: Depth=2
	v_ashrrev_i32_e32 v9, 31, v6
	v_add_nc_u32_e32 v8, v5, v6
	v_add_co_u32 v10, vcc_lo, v6, v1
	v_add_nc_u32_e32 v7, 0x100, v7
	v_add_co_ci_u32_e64 v11, null, v9, v2, vcc_lo
	v_ashrrev_i32_e32 v9, 31, v8
	v_add_nc_u32_e32 v6, s1, v6
	v_lshlrev_b64 v[10:11], 3, v[10:11]
	v_lshlrev_b64 v[8:9], 3, v[8:9]
	v_add_co_u32 v10, vcc_lo, s20, v10
	v_add_co_ci_u32_e64 v11, null, s33, v11, vcc_lo
	v_add_co_u32 v8, vcc_lo, s20, v8
	v_add_co_ci_u32_e64 v9, null, s33, v9, vcc_lo
	s_clause 0x1
	global_load_dwordx2 v[12:13], v[10:11], off offset:-8
	global_load_dwordx2 v[14:15], v[8:9], off
	v_cmp_ge_i32_e32 vcc_lo, v7, v4
	s_waitcnt vmcnt(1)
	global_store_dwordx2 v[8:9], v[12:13], off
	s_waitcnt vmcnt(0)
	global_store_dwordx2 v[10:11], v[14:15], off offset:-8
	s_or_b32 s3, vcc_lo, s3
	s_andn2_b32 exec_lo, exec_lo, s3
	s_cbranch_execnz .LBB6_262
	s_branch .LBB6_257
.LBB6_263:
	s_endpgm
.LBB6_264:
	v_mov_b32_e32 v1, 0
	s_and_saveexec_b32 s1, s0
	s_cbranch_execnz .LBB6_233
	s_branch .LBB6_234
	.section	.rodata,"a",@progbits
	.p2align	6, 0x0
	.amdhsa_kernel _ZN9rocsolver6v33100L18lasyf_kernel_lowerI19rocblas_complex_numIfEPS3_EEviiPiT0_iilS5_lS5_PT_
		.amdhsa_group_segment_fixed_size 2068
		.amdhsa_private_segment_fixed_size 0
		.amdhsa_kernarg_size 72
		.amdhsa_user_sgpr_count 6
		.amdhsa_user_sgpr_private_segment_buffer 1
		.amdhsa_user_sgpr_dispatch_ptr 0
		.amdhsa_user_sgpr_queue_ptr 0
		.amdhsa_user_sgpr_kernarg_segment_ptr 1
		.amdhsa_user_sgpr_dispatch_id 0
		.amdhsa_user_sgpr_flat_scratch_init 0
		.amdhsa_user_sgpr_private_segment_size 0
		.amdhsa_wavefront_size32 1
		.amdhsa_uses_dynamic_stack 0
		.amdhsa_system_sgpr_private_segment_wavefront_offset 0
		.amdhsa_system_sgpr_workgroup_id_x 1
		.amdhsa_system_sgpr_workgroup_id_y 1
		.amdhsa_system_sgpr_workgroup_id_z 0
		.amdhsa_system_sgpr_workgroup_info 0
		.amdhsa_system_vgpr_workitem_id 0
		.amdhsa_next_free_vgpr 51
		.amdhsa_next_free_sgpr 62
		.amdhsa_reserve_vcc 1
		.amdhsa_reserve_flat_scratch 0
		.amdhsa_float_round_mode_32 0
		.amdhsa_float_round_mode_16_64 0
		.amdhsa_float_denorm_mode_32 3
		.amdhsa_float_denorm_mode_16_64 3
		.amdhsa_dx10_clamp 1
		.amdhsa_ieee_mode 1
		.amdhsa_fp16_overflow 0
		.amdhsa_workgroup_processor_mode 1
		.amdhsa_memory_ordered 1
		.amdhsa_forward_progress 1
		.amdhsa_shared_vgpr_count 0
		.amdhsa_exception_fp_ieee_invalid_op 0
		.amdhsa_exception_fp_denorm_src 0
		.amdhsa_exception_fp_ieee_div_zero 0
		.amdhsa_exception_fp_ieee_overflow 0
		.amdhsa_exception_fp_ieee_underflow 0
		.amdhsa_exception_fp_ieee_inexact 0
		.amdhsa_exception_int_div_zero 0
	.end_amdhsa_kernel
	.section	.text._ZN9rocsolver6v33100L18lasyf_kernel_lowerI19rocblas_complex_numIfEPS3_EEviiPiT0_iilS5_lS5_PT_,"axG",@progbits,_ZN9rocsolver6v33100L18lasyf_kernel_lowerI19rocblas_complex_numIfEPS3_EEviiPiT0_iilS5_lS5_PT_,comdat
.Lfunc_end6:
	.size	_ZN9rocsolver6v33100L18lasyf_kernel_lowerI19rocblas_complex_numIfEPS3_EEviiPiT0_iilS5_lS5_PT_, .Lfunc_end6-_ZN9rocsolver6v33100L18lasyf_kernel_lowerI19rocblas_complex_numIfEPS3_EEviiPiT0_iilS5_lS5_PT_
                                        ; -- End function
	.set _ZN9rocsolver6v33100L18lasyf_kernel_lowerI19rocblas_complex_numIfEPS3_EEviiPiT0_iilS5_lS5_PT_.num_vgpr, 51
	.set _ZN9rocsolver6v33100L18lasyf_kernel_lowerI19rocblas_complex_numIfEPS3_EEviiPiT0_iilS5_lS5_PT_.num_agpr, 0
	.set _ZN9rocsolver6v33100L18lasyf_kernel_lowerI19rocblas_complex_numIfEPS3_EEviiPiT0_iilS5_lS5_PT_.numbered_sgpr, 62
	.set _ZN9rocsolver6v33100L18lasyf_kernel_lowerI19rocblas_complex_numIfEPS3_EEviiPiT0_iilS5_lS5_PT_.num_named_barrier, 0
	.set _ZN9rocsolver6v33100L18lasyf_kernel_lowerI19rocblas_complex_numIfEPS3_EEviiPiT0_iilS5_lS5_PT_.private_seg_size, 0
	.set _ZN9rocsolver6v33100L18lasyf_kernel_lowerI19rocblas_complex_numIfEPS3_EEviiPiT0_iilS5_lS5_PT_.uses_vcc, 1
	.set _ZN9rocsolver6v33100L18lasyf_kernel_lowerI19rocblas_complex_numIfEPS3_EEviiPiT0_iilS5_lS5_PT_.uses_flat_scratch, 0
	.set _ZN9rocsolver6v33100L18lasyf_kernel_lowerI19rocblas_complex_numIfEPS3_EEviiPiT0_iilS5_lS5_PT_.has_dyn_sized_stack, 0
	.set _ZN9rocsolver6v33100L18lasyf_kernel_lowerI19rocblas_complex_numIfEPS3_EEviiPiT0_iilS5_lS5_PT_.has_recursion, 0
	.set _ZN9rocsolver6v33100L18lasyf_kernel_lowerI19rocblas_complex_numIfEPS3_EEviiPiT0_iilS5_lS5_PT_.has_indirect_call, 0
	.section	.AMDGPU.csdata,"",@progbits
; Kernel info:
; codeLenInByte = 12524
; TotalNumSgprs: 64
; NumVgprs: 51
; ScratchSize: 0
; MemoryBound: 0
; FloatMode: 240
; IeeeMode: 1
; LDSByteSize: 2068 bytes/workgroup (compile time only)
; SGPRBlocks: 0
; VGPRBlocks: 6
; NumSGPRsForWavesPerEU: 64
; NumVGPRsForWavesPerEU: 51
; Occupancy: 16
; WaveLimiterHint : 1
; COMPUTE_PGM_RSRC2:SCRATCH_EN: 0
; COMPUTE_PGM_RSRC2:USER_SGPR: 6
; COMPUTE_PGM_RSRC2:TRAP_HANDLER: 0
; COMPUTE_PGM_RSRC2:TGID_X_EN: 1
; COMPUTE_PGM_RSRC2:TGID_Y_EN: 1
; COMPUTE_PGM_RSRC2:TGID_Z_EN: 0
; COMPUTE_PGM_RSRC2:TIDIG_COMP_CNT: 0
	.section	.text._ZN9rocsolver6v33100L18lasyf_kernel_upperI19rocblas_complex_numIdEPS3_EEviiPiT0_iilS5_lS5_PT_,"axG",@progbits,_ZN9rocsolver6v33100L18lasyf_kernel_upperI19rocblas_complex_numIdEPS3_EEviiPiT0_iilS5_lS5_PT_,comdat
	.globl	_ZN9rocsolver6v33100L18lasyf_kernel_upperI19rocblas_complex_numIdEPS3_EEviiPiT0_iilS5_lS5_PT_ ; -- Begin function _ZN9rocsolver6v33100L18lasyf_kernel_upperI19rocblas_complex_numIdEPS3_EEviiPiT0_iilS5_lS5_PT_
	.p2align	8
	.type	_ZN9rocsolver6v33100L18lasyf_kernel_upperI19rocblas_complex_numIdEPS3_EEviiPiT0_iilS5_lS5_PT_,@function
_ZN9rocsolver6v33100L18lasyf_kernel_upperI19rocblas_complex_numIdEPS3_EEviiPiT0_iilS5_lS5_PT_: ; @_ZN9rocsolver6v33100L18lasyf_kernel_upperI19rocblas_complex_numIdEPS3_EEviiPiT0_iilS5_lS5_PT_
; %bb.0:
	v_cmp_eq_u32_e64 s0, 0, v0
	s_mov_b32 s26, s9
	s_and_saveexec_b32 s1, s0
; %bb.1:
	v_mov_b32_e32 v3, 0
	ds_write_b32 v3, v3 offset:3100
; %bb.2:
	s_or_b32 exec_lo, exec_lo, s1
	s_load_dwordx2 s[2:3], s[4:5], 0x4
	s_clause 0x4
	s_load_dwordx2 s[20:21], s[6:7], 0x18
	s_load_dwordx8 s[8:15], s[6:7], 0x20
	s_load_dwordx2 s[22:23], s[6:7], 0x0
	s_load_dwordx4 s[16:19], s[6:7], 0x8
	s_load_dwordx2 s[24:25], s[6:7], 0x40
	s_ashr_i32 s27, s26, 31
	v_lshlrev_b32_e32 v22, 4, v0
	v_add_nc_u32_e32 v20, 1, v0
	s_waitcnt lgkmcnt(0)
	s_lshr_b32 s1, s2, 16
	s_ashr_i32 s5, s20, 31
	s_mul_hi_u32 s2, s8, s26
	s_mul_i32 s7, s8, s27
	s_mul_i32 s9, s9, s26
	s_add_i32 s2, s2, s7
	s_mul_i32 s6, s8, s26
	s_add_i32 s7, s2, s9
	s_mov_b32 s4, s20
	s_lshl_b64 s[28:29], s[6:7], 4
	s_mul_i32 s1, s1, s3
	s_add_u32 s6, s18, s28
	s_mul_hi_u32 s30, s12, s26
	s_mul_i32 s31, s12, s27
	s_mul_i32 s9, s13, s26
	;; [unrolled: 1-line block ×3, first 2 shown]
	s_addc_u32 s7, s19, s29
	s_lshl_b64 s[12:13], s[4:5], 4
	v_mul_lo_u32 v3, s1, v0
	s_add_u32 s20, s6, s12
	v_mul_u32_u24_e32 v1, s3, v1
	s_addc_u32 s33, s7, s13
	s_add_i32 s3, s30, s31
	s_mul_i32 s8, s22, s26
	s_add_i32 s3, s3, s9
	s_mul_i32 s8, s8, s23
	s_lshl_b64 s[2:3], s[2:3], 2
	s_ashr_i32 s9, s8, 31
	s_add_u32 s42, s10, s2
	v_add3_u32 v21, v3, v1, v2
	s_addc_u32 s43, s11, s3
	s_add_i32 s44, s22, -1
	s_mov_b32 s1, s23
	s_cmp_lt_i32 s44, 0
	s_mov_b32 s10, s44
	s_cbranch_scc1 .LBB7_236
; %bb.3:
	s_lshl_b64 s[2:3], s[8:9], 4
	s_sub_i32 s45, s23, s22
	s_add_u32 s46, s24, s2
	s_addc_u32 s47, s25, s3
	s_add_i32 s61, s23, -1
	s_sub_i32 s48, s22, s23
	s_cmp_eq_u32 s23, s22
	v_lshlrev_b32_e32 v1, 4, v21
	s_cselect_b32 s6, -1, 0
	s_add_i32 s49, s21, 1
	s_lshl_b32 s50, s22, 1
	s_add_u32 s4, s28, s12
	s_addc_u32 s5, s29, s13
	s_add_u32 s51, s18, s4
	s_addc_u32 s52, s19, s5
	s_ashr_i32 s5, s21, 31
	s_mov_b32 s4, s21
	v_add_nc_u32_e32 v23, 0x1c20, v1
	v_add_nc_u32_e32 v24, 0xc20, v1
	v_add_co_u32 v1, s7, s51, v22
	s_lshl_b64 s[30:31], s[4:5], 4
	v_add_co_ci_u32_e64 v2, null, s52, 0, s7
	s_add_u32 s53, s46, 8
	s_addc_u32 s54, s47, 0
	s_ashr_i32 s5, s22, 31
	s_mov_b32 s4, s22
	v_add_nc_u32_e32 v3, s23, v0
	v_add_co_u32 v27, vcc_lo, v1, 8
	s_lshl_b64 s[34:35], s[4:5], 4
	v_add_co_u32 v1, s4, s46, v22
	v_add_co_ci_u32_e64 v28, null, 0, v2, vcc_lo
	v_add_co_ci_u32_e64 v2, null, s47, 0, s4
	v_subrev_nc_u32_e32 v3, s22, v3
	v_add_co_u32 v29, vcc_lo, v1, 8
	v_add_co_ci_u32_e64 v30, null, 0, v2, vcc_lo
	v_add_co_u32 v31, vcc_lo, v1, 16
	v_lshlrev_b32_e32 v25, 3, v0
	v_lshl_or_b32 v26, v0, 2, 0x800
	v_cmp_gt_u32_e64 s1, 0x80, v0
	v_cmp_gt_u32_e64 s2, 64, v0
	;; [unrolled: 1-line block ×3, first 2 shown]
	v_mov_b32_e32 v9, 0
	v_add_co_ci_u32_e64 v32, null, 0, v2, vcc_lo
	v_add_nc_u32_e32 v33, 1, v3
	s_lshl_b32 s55, s21, 8
	s_lshl_b32 s56, s22, 8
	s_add_u32 s57, s51, 8
	s_mov_b32 s36, 0x66afed07
	s_addc_u32 s58, s52, 0
	s_mov_b32 s59, 0
	s_mov_b32 s37, 0x3fe47e0f
	s_xor_b32 s60, s6, -1
	s_mov_b32 s10, s44
	s_branch .LBB7_6
.LBB7_4:                                ;   in Loop: Header=BB7_6 Depth=1
	s_or_b32 exec_lo, exec_lo, s38
	s_add_i32 s10, s7, s10
	s_add_i32 s61, s10, s45
	s_cmp_lt_i32 s10, 0
	s_cselect_b32 s4, -1, 0
.LBB7_5:                                ;   in Loop: Header=BB7_6 Depth=1
	s_and_b32 vcc_lo, exec_lo, s4
	s_cbranch_vccnz .LBB7_235
.LBB7_6:                                ; =>This Loop Header: Depth=1
                                        ;     Child Loop BB7_9 Depth 2
                                        ;     Child Loop BB7_16 Depth 2
                                        ;       Child Loop BB7_18 Depth 3
                                        ;     Child Loop BB7_22 Depth 2
                                        ;     Child Loop BB7_67 Depth 2
	;; [unrolled: 1-line block ×4, first 2 shown]
                                        ;       Child Loop BB7_80 Depth 3
                                        ;     Child Loop BB7_85 Depth 2
                                        ;     Child Loop BB7_129 Depth 2
	;; [unrolled: 1-line block ×9, first 2 shown]
	s_cmp_le_i32 s10, s48
	s_cselect_b32 s4, -1, 0
	s_and_b32 s4, s60, s4
	s_and_b32 vcc_lo, exec_lo, s4
	s_mov_b32 s4, -1
	s_cbranch_vccnz .LBB7_5
; %bb.7:                                ;   in Loop: Header=BB7_6 Depth=1
	v_cmp_ge_i32_e64 s5, s10, v0
	s_and_saveexec_b32 s6, s5
	s_cbranch_execz .LBB7_10
; %bb.8:                                ;   in Loop: Header=BB7_6 Depth=1
	v_mad_u64_u32 v[1:2], null, s61, s22, v[0:1]
	v_mov_b32_e32 v5, v0
	s_mov_b32 s7, 0
	v_mad_u64_u32 v[3:4], null, s10, s21, v[0:1]
	v_ashrrev_i32_e32 v2, 31, v1
	v_lshlrev_b64 v[1:2], 4, v[1:2]
	v_ashrrev_i32_e32 v4, 31, v3
	v_add_co_u32 v1, vcc_lo, s46, v1
	v_lshlrev_b64 v[3:4], 4, v[3:4]
	v_add_co_ci_u32_e64 v2, null, s47, v2, vcc_lo
	v_add_co_u32 v3, vcc_lo, s51, v3
	v_add_co_ci_u32_e64 v4, null, s52, v4, vcc_lo
	.p2align	6
.LBB7_9:                                ;   Parent Loop BB7_6 Depth=1
                                        ; =>  This Inner Loop Header: Depth=2
	global_load_dwordx4 v[10:13], v[3:4], off
	v_add_nc_u32_e32 v5, 0x100, v5
	v_add_co_u32 v3, vcc_lo, 0x1000, v3
	v_add_co_ci_u32_e64 v4, null, 0, v4, vcc_lo
	v_cmp_lt_i32_e32 vcc_lo, s10, v5
	s_or_b32 s7, vcc_lo, s7
	s_waitcnt vmcnt(0)
	global_store_dwordx4 v[1:2], v[10:13], off
	v_add_co_u32 v1, s4, 0x1000, v1
	v_add_co_ci_u32_e64 v2, null, 0, v2, s4
	s_andn2_b32 exec_lo, exec_lo, s7
	s_cbranch_execnz .LBB7_9
.LBB7_10:                               ;   in Loop: Header=BB7_6 Depth=1
	s_or_b32 exec_lo, exec_lo, s6
	s_cmp_ge_i32 s10, s44
	s_mov_b32 s4, -1
	s_cselect_b32 s62, -1, 0
	s_cmp_lt_i32 s10, s44
	s_waitcnt_vscnt null, 0x0
	s_barrier
	buffer_gl0_inv
                                        ; implicit-def: $sgpr38
	s_cbranch_scc1 .LBB7_12
; %bb.11:                               ;   in Loop: Header=BB7_6 Depth=1
	s_mul_i32 s38, s61, s22
	s_mov_b32 s4, 0
	s_ashr_i32 s39, s38, 31
.LBB7_12:                               ;   in Loop: Header=BB7_6 Depth=1
	s_andn2_b32 vcc_lo, exec_lo, s4
	s_cbranch_vccnz .LBB7_20
; %bb.13:                               ;   in Loop: Header=BB7_6 Depth=1
	s_mul_i32 s38, s61, s22
	s_ashr_i32 s39, s38, 31
	s_and_saveexec_b32 s63, s5
	s_cbranch_execz .LBB7_19
; %bb.14:                               ;   in Loop: Header=BB7_6 Depth=1
	s_add_i32 s4, s10, 1
	s_not_b32 s7, s10
	s_mul_i32 s6, s4, s21
	s_add_i32 s4, s61, 1
	s_lshl_b64 s[66:67], s[38:39], 4
	s_mul_i32 s40, s4, s22
	s_add_i32 s64, s22, s7
	s_ashr_i32 s7, s6, 31
	s_ashr_i32 s41, s40, 31
	s_add_u32 s65, s46, s66
	s_addc_u32 s66, s47, s67
	s_cmp_gt_i32 s64, 0
	s_mov_b32 s11, s59
	s_cselect_b32 s68, -1, 0
	s_lshl_b64 s[6:7], s[6:7], 4
	s_lshl_b64 s[40:41], s[40:41], 4
	;; [unrolled: 1-line block ×3, first 2 shown]
	v_add_co_u32 v1, vcc_lo, v27, s6
	v_add_co_ci_u32_e64 v2, null, s7, v28, vcc_lo
	s_add_u32 s4, s40, s70
	v_mov_b32_e32 v8, v0
	s_addc_u32 s7, s41, s71
	s_add_u32 s6, s53, s4
	s_mov_b32 s67, 0
	s_addc_u32 s7, s54, s7
	s_branch .LBB7_16
.LBB7_15:                               ;   in Loop: Header=BB7_16 Depth=2
	v_lshlrev_b64 v[10:11], 4, v[8:9]
	v_fma_f64 v[16:17], 0x80000000, v[3:4], -v[5:6]
	v_fma_f64 v[5:6], v[5:6], 0, -v[3:4]
	v_add_nc_u32_e32 v8, 0x100, v8
	v_add_co_u32 v1, s4, 0x1000, v1
	v_add_co_u32 v14, vcc_lo, s65, v10
	v_add_co_ci_u32_e64 v15, null, s66, v11, vcc_lo
	v_cmp_lt_i32_e32 vcc_lo, s10, v8
	v_add_co_ci_u32_e64 v2, null, 0, v2, s4
	global_load_dwordx4 v[10:13], v[14:15], off
	s_or_b32 s67, vcc_lo, s67
	s_waitcnt vmcnt(0)
	v_fma_f64 v[3:4], 0x80000000, v[12:13], v[10:11]
	v_fma_f64 v[10:11], v[10:11], 0, v[12:13]
	v_add_f64 v[3:4], v[16:17], v[3:4]
	v_add_f64 v[5:6], v[5:6], v[10:11]
	global_store_dwordx4 v[14:15], v[3:6], off
	s_andn2_b32 exec_lo, exec_lo, s67
	s_cbranch_execz .LBB7_19
.LBB7_16:                               ;   Parent Loop BB7_6 Depth=1
                                        ; =>  This Loop Header: Depth=2
                                        ;       Child Loop BB7_18 Depth 3
	v_mov_b32_e32 v3, 0
	v_mov_b32_e32 v5, 0
	;; [unrolled: 1-line block ×4, first 2 shown]
	s_andn2_b32 vcc_lo, exec_lo, s68
	s_cbranch_vccnz .LBB7_15
; %bb.17:                               ;   in Loop: Header=BB7_16 Depth=2
	v_mov_b32_e32 v11, v2
	v_mov_b32_e32 v10, v1
	s_mov_b64 s[40:41], s[6:7]
	s_mov_b32 s4, s64
	.p2align	6
.LBB7_18:                               ;   Parent Loop BB7_6 Depth=1
                                        ;     Parent Loop BB7_16 Depth=2
                                        ; =>    This Inner Loop Header: Depth=3
	global_load_dwordx4 v[12:15], v9, s[40:41] offset:-8
	global_load_dwordx4 v[16:19], v[10:11], off offset:-8
	v_add_co_u32 v10, vcc_lo, v10, s30
	s_add_i32 s4, s4, -1
	v_add_co_ci_u32_e64 v11, null, s31, v11, vcc_lo
	s_add_u32 s40, s40, s34
	s_addc_u32 s41, s41, s35
	s_cmp_eq_u32 s4, 0
	s_waitcnt vmcnt(0)
	v_mul_f64 v[34:35], v[14:15], v[18:19]
	v_mul_f64 v[18:19], v[12:13], v[18:19]
	v_fma_f64 v[12:13], v[12:13], v[16:17], -v[34:35]
	v_fma_f64 v[14:15], v[14:15], v[16:17], v[18:19]
	v_add_f64 v[5:6], v[5:6], v[12:13]
	v_add_f64 v[3:4], v[3:4], v[14:15]
	s_cbranch_scc0 .LBB7_18
	s_branch .LBB7_15
.LBB7_19:                               ;   in Loop: Header=BB7_6 Depth=1
	s_or_b32 exec_lo, exec_lo, s63
	s_waitcnt_vscnt null, 0x0
	s_barrier
	buffer_gl0_inv
.LBB7_20:                               ;   in Loop: Header=BB7_6 Depth=1
	v_mov_b32_e32 v1, 0
	v_cmp_gt_i32_e64 s4, s10, v0
	v_mov_b32_e32 v2, 0
	v_bfrev_b32_e32 v5, -2
	s_and_saveexec_b32 s11, s4
	s_cbranch_execz .LBB7_24
; %bb.21:                               ;   in Loop: Header=BB7_6 Depth=1
	s_lshl_b64 s[6:7], s[38:39], 4
	v_mov_b32_e32 v1, 0
	v_add_co_u32 v3, vcc_lo, v29, s6
	v_add_co_ci_u32_e64 v4, null, s7, v30, vcc_lo
	v_bfrev_b32_e32 v5, -2
	v_mov_b32_e32 v2, 0
	v_mov_b32_e32 v6, v0
	s_mov_b32 s39, 0
	s_inst_prefetch 0x1
	.p2align	6
.LBB7_22:                               ;   Parent Loop BB7_6 Depth=1
                                        ; =>  This Inner Loop Header: Depth=2
	global_load_dwordx4 v[10:13], v[3:4], off offset:-8
	v_add_co_u32 v3, s7, 0x1000, v3
	v_add_co_ci_u32_e64 v4, null, 0, v4, s7
	s_waitcnt vmcnt(0)
	v_cmp_gt_f64_e32 vcc_lo, 0, v[12:13]
	v_cmp_gt_f64_e64 s6, 0, v[10:11]
	v_xor_b32_e32 v7, 0x80000000, v11
	v_xor_b32_e32 v8, 0x80000000, v13
	v_cndmask_b32_e32 v13, v13, v8, vcc_lo
	v_cndmask_b32_e64 v11, v11, v7, s6
	v_cmp_eq_u32_e64 s6, 0x7fffffff, v5
	v_add_f64 v[7:8], v[10:11], v[12:13]
	v_add_nc_u32_e32 v10, 1, v6
	v_add_nc_u32_e32 v6, 0x100, v6
	v_cmp_le_i32_e64 s7, s10, v6
	v_cmp_lt_f64_e32 vcc_lo, v[1:2], v[7:8]
	s_or_b32 vcc_lo, vcc_lo, s6
	s_or_b32 s39, s7, s39
	v_cndmask_b32_e32 v5, v5, v10, vcc_lo
	v_cndmask_b32_e32 v2, v2, v8, vcc_lo
	;; [unrolled: 1-line block ×3, first 2 shown]
	s_andn2_b32 exec_lo, exec_lo, s39
	s_cbranch_execnz .LBB7_22
; %bb.23:                               ;   in Loop: Header=BB7_6 Depth=1
	s_inst_prefetch 0x2
	s_or_b32 exec_lo, exec_lo, s39
.LBB7_24:                               ;   in Loop: Header=BB7_6 Depth=1
	s_or_b32 exec_lo, exec_lo, s11
	s_cmp_lt_i32 s10, 2
	ds_write_b64 v25, v[1:2]
	ds_write_b32 v26, v5
	s_waitcnt lgkmcnt(0)
	s_barrier
	buffer_gl0_inv
	s_cbranch_scc1 .LBB7_61
; %bb.25:                               ;   in Loop: Header=BB7_6 Depth=1
	s_and_saveexec_b32 s7, s1
	s_cbranch_execz .LBB7_31
; %bb.26:                               ;   in Loop: Header=BB7_6 Depth=1
	ds_read_b64 v[3:4], v25 offset:1024
	ds_read_b32 v6, v26 offset:512
	s_mov_b32 s39, exec_lo
	s_waitcnt lgkmcnt(1)
	v_cmp_lt_f64_e64 s11, v[1:2], v[3:4]
	v_cmpx_nlt_f64_e32 v[1:2], v[3:4]
	s_cbranch_execz .LBB7_28
; %bb.27:                               ;   in Loop: Header=BB7_6 Depth=1
	v_cmp_eq_f64_e32 vcc_lo, v[1:2], v[3:4]
	s_waitcnt lgkmcnt(0)
	v_cmp_gt_i32_e64 s6, v5, v6
	s_andn2_b32 s11, s11, exec_lo
	s_and_b32 s6, vcc_lo, s6
	s_and_b32 s6, s6, exec_lo
	s_or_b32 s11, s11, s6
.LBB7_28:                               ;   in Loop: Header=BB7_6 Depth=1
	s_or_b32 exec_lo, exec_lo, s39
	s_and_saveexec_b32 s6, s11
	s_cbranch_execz .LBB7_30
; %bb.29:                               ;   in Loop: Header=BB7_6 Depth=1
	v_mov_b32_e32 v1, v3
	v_mov_b32_e32 v2, v4
	s_waitcnt lgkmcnt(0)
	v_mov_b32_e32 v5, v6
	ds_write_b64 v25, v[3:4]
	ds_write_b32 v26, v6
.LBB7_30:                               ;   in Loop: Header=BB7_6 Depth=1
	s_or_b32 exec_lo, exec_lo, s6
.LBB7_31:                               ;   in Loop: Header=BB7_6 Depth=1
	s_or_b32 exec_lo, exec_lo, s7
	s_waitcnt lgkmcnt(0)
	s_barrier
	buffer_gl0_inv
	s_and_saveexec_b32 s7, s2
	s_cbranch_execz .LBB7_37
; %bb.32:                               ;   in Loop: Header=BB7_6 Depth=1
	ds_read_b64 v[3:4], v25 offset:512
	ds_read_b32 v6, v26 offset:256
	s_mov_b32 s39, exec_lo
	s_waitcnt lgkmcnt(1)
	v_cmp_lt_f64_e64 s11, v[1:2], v[3:4]
	v_cmpx_nlt_f64_e32 v[1:2], v[3:4]
	s_cbranch_execz .LBB7_34
; %bb.33:                               ;   in Loop: Header=BB7_6 Depth=1
	v_cmp_eq_f64_e32 vcc_lo, v[1:2], v[3:4]
	s_waitcnt lgkmcnt(0)
	v_cmp_gt_i32_e64 s6, v5, v6
	s_andn2_b32 s11, s11, exec_lo
	s_and_b32 s6, vcc_lo, s6
	s_and_b32 s6, s6, exec_lo
	s_or_b32 s11, s11, s6
.LBB7_34:                               ;   in Loop: Header=BB7_6 Depth=1
	s_or_b32 exec_lo, exec_lo, s39
	s_and_saveexec_b32 s6, s11
	s_cbranch_execz .LBB7_36
; %bb.35:                               ;   in Loop: Header=BB7_6 Depth=1
	v_mov_b32_e32 v1, v3
	v_mov_b32_e32 v2, v4
	s_waitcnt lgkmcnt(0)
	v_mov_b32_e32 v5, v6
	ds_write_b64 v25, v[3:4]
	ds_write_b32 v26, v6
.LBB7_36:                               ;   in Loop: Header=BB7_6 Depth=1
	s_or_b32 exec_lo, exec_lo, s6
.LBB7_37:                               ;   in Loop: Header=BB7_6 Depth=1
	s_or_b32 exec_lo, exec_lo, s7
	s_waitcnt lgkmcnt(0)
	s_barrier
	buffer_gl0_inv
	s_and_saveexec_b32 s11, s3
	s_cbranch_execz .LBB7_60
; %bb.38:                               ;   in Loop: Header=BB7_6 Depth=1
	ds_read_b64 v[3:4], v25 offset:256
	ds_read_b32 v6, v26 offset:128
	s_mov_b32 s39, exec_lo
	s_waitcnt lgkmcnt(1)
	v_cmp_lt_f64_e64 s7, v[1:2], v[3:4]
	v_cmpx_nlt_f64_e32 v[1:2], v[3:4]
	s_cbranch_execz .LBB7_40
; %bb.39:                               ;   in Loop: Header=BB7_6 Depth=1
	v_cmp_eq_f64_e32 vcc_lo, v[1:2], v[3:4]
	s_waitcnt lgkmcnt(0)
	v_cmp_gt_i32_e64 s6, v5, v6
	s_andn2_b32 s7, s7, exec_lo
	s_and_b32 s6, vcc_lo, s6
	s_and_b32 s6, s6, exec_lo
	s_or_b32 s7, s7, s6
.LBB7_40:                               ;   in Loop: Header=BB7_6 Depth=1
	s_or_b32 exec_lo, exec_lo, s39
	s_and_saveexec_b32 s6, s7
	s_cbranch_execz .LBB7_42
; %bb.41:                               ;   in Loop: Header=BB7_6 Depth=1
	v_mov_b32_e32 v1, v3
	s_waitcnt lgkmcnt(0)
	v_mov_b32_e32 v5, v6
	v_mov_b32_e32 v2, v4
	ds_write_b64 v25, v[3:4]
	ds_write_b32 v26, v6
.LBB7_42:                               ;   in Loop: Header=BB7_6 Depth=1
	s_or_b32 exec_lo, exec_lo, s6
	ds_read_b64 v[3:4], v25 offset:128
	s_waitcnt lgkmcnt(1)
	ds_read_b32 v6, v26 offset:64
	s_mov_b32 s39, exec_lo
	s_waitcnt lgkmcnt(1)
	v_cmp_lt_f64_e64 s7, v[1:2], v[3:4]
	v_cmpx_nlt_f64_e32 v[1:2], v[3:4]
	s_cbranch_execz .LBB7_44
; %bb.43:                               ;   in Loop: Header=BB7_6 Depth=1
	v_cmp_eq_f64_e32 vcc_lo, v[1:2], v[3:4]
	s_waitcnt lgkmcnt(0)
	v_cmp_gt_i32_e64 s6, v5, v6
	s_andn2_b32 s7, s7, exec_lo
	s_and_b32 s6, vcc_lo, s6
	s_and_b32 s6, s6, exec_lo
	s_or_b32 s7, s7, s6
.LBB7_44:                               ;   in Loop: Header=BB7_6 Depth=1
	s_or_b32 exec_lo, exec_lo, s39
	s_and_saveexec_b32 s6, s7
	s_cbranch_execz .LBB7_46
; %bb.45:                               ;   in Loop: Header=BB7_6 Depth=1
	v_mov_b32_e32 v1, v3
	s_waitcnt lgkmcnt(0)
	v_mov_b32_e32 v5, v6
	v_mov_b32_e32 v2, v4
	ds_write_b64 v25, v[3:4]
	ds_write_b32 v26, v6
.LBB7_46:                               ;   in Loop: Header=BB7_6 Depth=1
	s_or_b32 exec_lo, exec_lo, s6
	ds_read_b64 v[3:4], v25 offset:64
	s_waitcnt lgkmcnt(1)
	;; [unrolled: 29-line block ×5, first 2 shown]
	ds_read_b32 v6, v26 offset:4
	s_waitcnt lgkmcnt(1)
	v_cmp_eq_f64_e32 vcc_lo, v[1:2], v[3:4]
	v_cmp_lt_f64_e64 s6, v[1:2], v[3:4]
	s_waitcnt lgkmcnt(0)
	v_cmp_gt_i32_e64 s7, v5, v6
	s_and_b32 s7, vcc_lo, s7
	s_or_b32 s6, s6, s7
	s_and_b32 exec_lo, exec_lo, s6
	s_cbranch_execz .LBB7_60
; %bb.59:                               ;   in Loop: Header=BB7_6 Depth=1
	ds_write_b64 v25, v[3:4]
	ds_write_b32 v26, v6
.LBB7_60:                               ;   in Loop: Header=BB7_6 Depth=1
	s_or_b32 exec_lo, exec_lo, s11
.LBB7_61:                               ;   in Loop: Header=BB7_6 Depth=1
	s_and_saveexec_b32 s6, s0
	s_cbranch_execz .LBB7_63
; %bb.62:                               ;   in Loop: Header=BB7_6 Depth=1
	s_add_i32 s40, s38, s10
	s_ashr_i32 s41, s40, 31
	s_lshl_b64 s[40:41], s[40:41], 4
	s_add_u32 s40, s46, s40
	s_addc_u32 s41, s47, s41
	global_load_dwordx4 v[1:4], v9, s[40:41]
	s_waitcnt vmcnt(0)
	v_cmp_gt_f64_e32 vcc_lo, 0, v[1:2]
	v_xor_b32_e32 v5, 0x80000000, v2
	v_xor_b32_e32 v6, 0x80000000, v4
	v_cndmask_b32_e32 v2, v2, v5, vcc_lo
	v_cmp_gt_f64_e32 vcc_lo, 0, v[3:4]
	ds_read_b32 v5, v9 offset:2048
	v_cndmask_b32_e32 v4, v4, v6, vcc_lo
	v_add_f64 v[1:2], v[1:2], v[3:4]
	ds_read_b64 v[3:4], v9
	s_waitcnt lgkmcnt(1)
	v_add_nc_u32_e32 v5, -1, v5
	ds_write_b32 v9, v5 offset:3096
	s_waitcnt lgkmcnt(1)
	ds_write_b128 v9, v[1:4] offset:3072
.LBB7_63:                               ;   in Loop: Header=BB7_6 Depth=1
	s_or_b32 exec_lo, exec_lo, s6
	s_waitcnt lgkmcnt(0)
	s_barrier
	buffer_gl0_inv
	ds_read_b128 v[1:4], v9 offset:3072
	s_waitcnt lgkmcnt(0)
	v_cmp_lt_f64_e32 vcc_lo, v[1:2], v[3:4]
	v_cndmask_b32_e32 v6, v2, v4, vcc_lo
	v_cndmask_b32_e32 v5, v1, v3, vcc_lo
	v_cmp_neq_f64_e32 vcc_lo, 0, v[5:6]
	s_cbranch_vccz .LBB7_81
; %bb.64:                               ;   in Loop: Header=BB7_6 Depth=1
	v_mul_f64 v[3:4], v[3:4], s[36:37]
	v_cmp_ge_f64_e32 vcc_lo, v[1:2], v[3:4]
	s_cbranch_vccnz .LBB7_177
; %bb.65:                               ;   in Loop: Header=BB7_6 Depth=1
	ds_read_b32 v1, v9 offset:3096
	s_mov_b32 s7, exec_lo
	s_waitcnt lgkmcnt(0)
	v_cmpx_le_i32_e64 v0, v1
	s_cbranch_execz .LBB7_68
; %bb.66:                               ;   in Loop: Header=BB7_6 Depth=1
	v_mad_u64_u32 v[2:3], null, v1, s21, v[0:1]
	s_add_i32 s6, s61, -1
	v_mov_b32_e32 v6, v0
	v_mad_u64_u32 v[4:5], null, s6, s22, v[0:1]
	s_mov_b32 s11, 0
	v_ashrrev_i32_e32 v3, 31, v2
	v_ashrrev_i32_e32 v5, 31, v4
	v_lshlrev_b64 v[2:3], 4, v[2:3]
	v_lshlrev_b64 v[4:5], 4, v[4:5]
	v_add_co_u32 v2, vcc_lo, s51, v2
	v_add_co_ci_u32_e64 v3, null, s52, v3, vcc_lo
	v_add_co_u32 v4, vcc_lo, s46, v4
	v_add_co_ci_u32_e64 v5, null, s47, v5, vcc_lo
	.p2align	6
.LBB7_67:                               ;   Parent Loop BB7_6 Depth=1
                                        ; =>  This Inner Loop Header: Depth=2
	global_load_dwordx4 v[10:13], v[2:3], off
	v_add_nc_u32_e32 v6, 0x100, v6
	v_add_co_u32 v2, vcc_lo, 0x1000, v2
	v_add_co_ci_u32_e64 v3, null, 0, v3, vcc_lo
	v_cmp_gt_i32_e32 vcc_lo, v6, v1
	s_or_b32 s11, vcc_lo, s11
	s_waitcnt vmcnt(0)
	global_store_dwordx4 v[4:5], v[10:13], off
	v_add_co_u32 v4, s6, 0x1000, v4
	v_add_co_ci_u32_e64 v5, null, 0, v5, s6
	s_andn2_b32 exec_lo, exec_lo, s11
	s_cbranch_execnz .LBB7_67
.LBB7_68:                               ;   in Loop: Header=BB7_6 Depth=1
	s_or_b32 exec_lo, exec_lo, s7
	v_sub_nc_u32_e32 v3, s10, v1
	s_mov_b32 s7, exec_lo
	v_cmpx_lt_i32_e64 v0, v3
	s_cbranch_execz .LBB7_71
; %bb.69:                               ;   in Loop: Header=BB7_6 Depth=1
	s_add_i32 s6, s61, -1
	v_add_nc_u32_e32 v2, v20, v1
	s_mul_i32 s6, s6, s22
	v_mov_b32_e32 v5, v0
	v_add_nc_u32_e32 v4, s6, v1
	s_mov_b32 s11, 0
	v_mad_u64_u32 v[1:2], null, s21, v2, v[1:2]
	v_add_nc_u32_e32 v4, 1, v4
	.p2align	6
.LBB7_70:                               ;   Parent Loop BB7_6 Depth=1
                                        ; =>  This Inner Loop Header: Depth=2
	v_ashrrev_i32_e32 v2, 31, v1
	v_lshlrev_b64 v[6:7], 4, v[1:2]
	v_add_nc_u32_e32 v1, s55, v1
	v_add_co_u32 v6, vcc_lo, s20, v6
	v_add_co_ci_u32_e64 v7, null, s33, v7, vcc_lo
	global_load_dwordx4 v[10:13], v[6:7], off
	v_add_nc_u32_e32 v6, v4, v5
	v_add_nc_u32_e32 v5, 0x100, v5
	v_ashrrev_i32_e32 v7, 31, v6
	v_cmp_ge_i32_e32 vcc_lo, v5, v3
	v_lshlrev_b64 v[6:7], 4, v[6:7]
	s_or_b32 s11, vcc_lo, s11
	v_add_co_u32 v6, s6, s46, v6
	v_add_co_ci_u32_e64 v7, null, s47, v7, s6
	s_waitcnt vmcnt(0)
	global_store_dwordx4 v[6:7], v[10:13], off
	s_andn2_b32 exec_lo, exec_lo, s11
	s_cbranch_execnz .LBB7_70
.LBB7_71:                               ;   in Loop: Header=BB7_6 Depth=1
	s_or_b32 exec_lo, exec_lo, s7
	s_andn2_b32 vcc_lo, exec_lo, s62
	s_mov_b32 s6, -1
	s_waitcnt_vscnt null, 0x0
	s_barrier
	buffer_gl0_inv
                                        ; implicit-def: $sgpr40
	s_cbranch_vccnz .LBB7_73
; %bb.72:                               ;   in Loop: Header=BB7_6 Depth=1
	s_add_i32 s6, s61, -1
	s_mul_i32 s40, s6, s22
	s_mov_b32 s6, 0
	s_ashr_i32 s41, s40, 31
.LBB7_73:                               ;   in Loop: Header=BB7_6 Depth=1
	s_andn2_b32 vcc_lo, exec_lo, s6
	s_cbranch_vccnz .LBB7_83
; %bb.74:                               ;   in Loop: Header=BB7_6 Depth=1
	s_add_i32 s6, s61, 1
	s_mul_i32 s6, s6, s22
	s_sub_i32 s40, s6, s50
	s_ashr_i32 s41, s40, 31
	s_and_saveexec_b32 s11, s5
	s_cbranch_execz .LBB7_82
; %bb.75:                               ;   in Loop: Header=BB7_6 Depth=1
	ds_read_b32 v1, v9 offset:3096
	s_add_i32 s64, s10, 1
	s_not_b32 s39, s10
	s_mul_i32 s66, s64, s21
	s_lshl_b64 s[62:63], s[40:41], 4
	s_ashr_i32 s7, s6, 31
	s_add_i32 s39, s22, s39
	s_ashr_i32 s67, s66, 31
	s_add_u32 s62, s46, s62
	s_addc_u32 s63, s47, s63
	s_cmp_gt_i32 s39, 0
	v_mov_b32_e32 v8, v0
	s_cselect_b32 s64, -1, 0
	s_lshl_b64 s[6:7], s[6:7], 4
	s_lshl_b64 s[66:67], s[66:67], 4
	s_waitcnt lgkmcnt(0)
	v_ashrrev_i32_e32 v2, 31, v1
	v_lshlrev_b64 v[1:2], 4, v[1:2]
	v_add_co_u32 v3, vcc_lo, v1, s6
	v_add_co_ci_u32_e64 v4, null, s7, v2, vcc_lo
	v_add_co_u32 v1, vcc_lo, v27, s66
	v_add_co_ci_u32_e64 v2, null, s67, v28, vcc_lo
	;; [unrolled: 2-line block ×3, first 2 shown]
	s_mov_b32 s7, 0
	s_branch .LBB7_78
.LBB7_76:                               ;   in Loop: Header=BB7_78 Depth=2
	v_mov_b32_e32 v10, 0
	v_mov_b32_e32 v11, 0
.LBB7_77:                               ;   in Loop: Header=BB7_78 Depth=2
	v_lshlrev_b64 v[12:13], 4, v[8:9]
	v_fma_f64 v[18:19], 0x80000000, v[5:6], -v[10:11]
	v_fma_f64 v[5:6], v[10:11], 0, -v[5:6]
	v_add_nc_u32_e32 v8, 0x100, v8
	v_add_co_u32 v1, s6, 0x1000, v1
	v_add_co_u32 v16, vcc_lo, s62, v12
	v_add_co_ci_u32_e64 v17, null, s63, v13, vcc_lo
	v_cmp_lt_i32_e32 vcc_lo, s10, v8
	v_add_co_ci_u32_e64 v2, null, 0, v2, s6
	global_load_dwordx4 v[12:15], v[16:17], off
	s_or_b32 s7, vcc_lo, s7
	s_waitcnt vmcnt(0)
	v_fma_f64 v[10:11], 0x80000000, v[14:15], v[12:13]
	v_fma_f64 v[12:13], v[12:13], 0, v[14:15]
	v_add_f64 v[10:11], v[18:19], v[10:11]
	v_add_f64 v[12:13], v[5:6], v[12:13]
	global_store_dwordx4 v[16:17], v[10:13], off
	s_andn2_b32 exec_lo, exec_lo, s7
	s_cbranch_execz .LBB7_82
.LBB7_78:                               ;   Parent Loop BB7_6 Depth=1
                                        ; =>  This Loop Header: Depth=2
                                        ;       Child Loop BB7_80 Depth 3
	v_mov_b32_e32 v5, 0
	v_mov_b32_e32 v6, 0
	s_andn2_b32 vcc_lo, exec_lo, s64
	s_cbranch_vccnz .LBB7_76
; %bb.79:                               ;   in Loop: Header=BB7_78 Depth=2
	v_mov_b32_e32 v13, v4
	v_mov_b32_e32 v10, 0
	;; [unrolled: 1-line block ×6, first 2 shown]
	s_mov_b32 s6, s39
	.p2align	6
.LBB7_80:                               ;   Parent Loop BB7_6 Depth=1
                                        ;     Parent Loop BB7_78 Depth=2
                                        ; =>    This Inner Loop Header: Depth=3
	global_load_dwordx4 v[16:19], v[12:13], off offset:-8
	global_load_dwordx4 v[34:37], v[14:15], off offset:-8
	v_add_co_u32 v14, vcc_lo, v14, s30
	v_add_co_ci_u32_e64 v15, null, s31, v15, vcc_lo
	v_add_co_u32 v12, vcc_lo, v12, s34
	v_add_co_ci_u32_e64 v13, null, s35, v13, vcc_lo
	s_add_i32 s6, s6, -1
	s_cmp_eq_u32 s6, 0
	s_waitcnt vmcnt(0)
	v_mul_f64 v[38:39], v[18:19], v[36:37]
	v_mul_f64 v[36:37], v[16:17], v[36:37]
	v_fma_f64 v[16:17], v[16:17], v[34:35], -v[38:39]
	v_fma_f64 v[18:19], v[18:19], v[34:35], v[36:37]
	v_add_f64 v[10:11], v[10:11], v[16:17]
	v_add_f64 v[5:6], v[5:6], v[18:19]
	s_cbranch_scc0 .LBB7_80
	s_branch .LBB7_77
.LBB7_81:                               ;   in Loop: Header=BB7_6 Depth=1
	s_mov_b32 s5, -1
                                        ; implicit-def: $sgpr6
                                        ; implicit-def: $sgpr7
                                        ; implicit-def: $sgpr39
	s_branch .LBB7_226
.LBB7_82:                               ;   in Loop: Header=BB7_6 Depth=1
	s_or_b32 exec_lo, exec_lo, s11
	s_waitcnt_vscnt null, 0x0
	s_barrier
	buffer_gl0_inv
.LBB7_83:                               ;   in Loop: Header=BB7_6 Depth=1
	ds_read_b32 v3, v9 offset:3096
	v_mov_b32_e32 v1, 0
	v_mov_b32_e32 v2, 0
	v_bfrev_b32_e32 v5, -2
	s_mov_b32 s11, exec_lo
	s_waitcnt lgkmcnt(0)
	v_sub_nc_u32_e32 v6, s10, v3
	v_cmpx_lt_i32_e64 v0, v6
	s_cbranch_execz .LBB7_87
; %bb.84:                               ;   in Loop: Header=BB7_6 Depth=1
	v_ashrrev_i32_e32 v4, 31, v3
	s_lshl_b64 s[6:7], s[40:41], 4
	v_bfrev_b32_e32 v5, -2
	v_mov_b32_e32 v7, v0
	s_mov_b32 s39, 0
	v_lshlrev_b64 v[1:2], 4, v[3:4]
	v_add_co_u32 v3, vcc_lo, s6, v1
	v_add_co_ci_u32_e64 v4, null, s7, v2, vcc_lo
	v_mov_b32_e32 v1, 0
	v_add_co_u32 v3, vcc_lo, v31, v3
	v_mov_b32_e32 v2, 0
	v_add_co_ci_u32_e64 v4, null, v32, v4, vcc_lo
	s_inst_prefetch 0x1
	.p2align	6
.LBB7_85:                               ;   Parent Loop BB7_6 Depth=1
                                        ; =>  This Inner Loop Header: Depth=2
	global_load_dwordx4 v[10:13], v[3:4], off
	v_add_co_u32 v3, s7, 0x1000, v3
	v_add_co_ci_u32_e64 v4, null, 0, v4, s7
	s_waitcnt vmcnt(0)
	v_cmp_gt_f64_e32 vcc_lo, 0, v[12:13]
	v_cmp_gt_f64_e64 s6, 0, v[10:11]
	v_xor_b32_e32 v8, 0x80000000, v11
	v_xor_b32_e32 v14, 0x80000000, v13
	v_cndmask_b32_e32 v13, v13, v14, vcc_lo
	v_cndmask_b32_e64 v11, v11, v8, s6
	v_cmp_eq_u32_e64 s6, 0x7fffffff, v5
	v_add_nc_u32_e32 v8, 1, v7
	v_add_nc_u32_e32 v7, 0x100, v7
	v_add_f64 v[10:11], v[10:11], v[12:13]
	v_cmp_ge_i32_e64 s7, v7, v6
	v_cmp_lt_f64_e32 vcc_lo, v[1:2], v[10:11]
	s_or_b32 vcc_lo, vcc_lo, s6
	s_or_b32 s39, s7, s39
	v_cndmask_b32_e32 v5, v5, v8, vcc_lo
	v_cndmask_b32_e32 v2, v2, v11, vcc_lo
	;; [unrolled: 1-line block ×3, first 2 shown]
	s_andn2_b32 exec_lo, exec_lo, s39
	s_cbranch_execnz .LBB7_85
; %bb.86:                               ;   in Loop: Header=BB7_6 Depth=1
	s_inst_prefetch 0x2
	s_or_b32 exec_lo, exec_lo, s39
.LBB7_87:                               ;   in Loop: Header=BB7_6 Depth=1
	s_or_b32 exec_lo, exec_lo, s11
	v_cmp_gt_i32_e32 vcc_lo, 2, v6
	ds_write_b64 v25, v[1:2]
	ds_write_b32 v26, v5
	s_waitcnt lgkmcnt(0)
	s_barrier
	buffer_gl0_inv
	s_cbranch_vccnz .LBB7_124
; %bb.88:                               ;   in Loop: Header=BB7_6 Depth=1
	s_and_saveexec_b32 s7, s1
	s_cbranch_execz .LBB7_94
; %bb.89:                               ;   in Loop: Header=BB7_6 Depth=1
	ds_read_b64 v[3:4], v25 offset:1024
	ds_read_b32 v6, v26 offset:512
	s_mov_b32 s39, exec_lo
	s_waitcnt lgkmcnt(1)
	v_cmp_lt_f64_e64 s11, v[1:2], v[3:4]
	v_cmpx_nlt_f64_e32 v[1:2], v[3:4]
	s_cbranch_execz .LBB7_91
; %bb.90:                               ;   in Loop: Header=BB7_6 Depth=1
	v_cmp_eq_f64_e32 vcc_lo, v[1:2], v[3:4]
	s_waitcnt lgkmcnt(0)
	v_cmp_gt_i32_e64 s6, v5, v6
	s_andn2_b32 s11, s11, exec_lo
	s_and_b32 s6, vcc_lo, s6
	s_and_b32 s6, s6, exec_lo
	s_or_b32 s11, s11, s6
.LBB7_91:                               ;   in Loop: Header=BB7_6 Depth=1
	s_or_b32 exec_lo, exec_lo, s39
	s_and_saveexec_b32 s6, s11
	s_cbranch_execz .LBB7_93
; %bb.92:                               ;   in Loop: Header=BB7_6 Depth=1
	v_mov_b32_e32 v1, v3
	v_mov_b32_e32 v2, v4
	s_waitcnt lgkmcnt(0)
	v_mov_b32_e32 v5, v6
	ds_write_b64 v25, v[3:4]
	ds_write_b32 v26, v6
.LBB7_93:                               ;   in Loop: Header=BB7_6 Depth=1
	s_or_b32 exec_lo, exec_lo, s6
.LBB7_94:                               ;   in Loop: Header=BB7_6 Depth=1
	s_or_b32 exec_lo, exec_lo, s7
	s_waitcnt lgkmcnt(0)
	s_barrier
	buffer_gl0_inv
	s_and_saveexec_b32 s7, s2
	s_cbranch_execz .LBB7_100
; %bb.95:                               ;   in Loop: Header=BB7_6 Depth=1
	ds_read_b64 v[3:4], v25 offset:512
	ds_read_b32 v6, v26 offset:256
	s_mov_b32 s39, exec_lo
	s_waitcnt lgkmcnt(1)
	v_cmp_lt_f64_e64 s11, v[1:2], v[3:4]
	v_cmpx_nlt_f64_e32 v[1:2], v[3:4]
	s_cbranch_execz .LBB7_97
; %bb.96:                               ;   in Loop: Header=BB7_6 Depth=1
	v_cmp_eq_f64_e32 vcc_lo, v[1:2], v[3:4]
	s_waitcnt lgkmcnt(0)
	v_cmp_gt_i32_e64 s6, v5, v6
	s_andn2_b32 s11, s11, exec_lo
	s_and_b32 s6, vcc_lo, s6
	s_and_b32 s6, s6, exec_lo
	s_or_b32 s11, s11, s6
.LBB7_97:                               ;   in Loop: Header=BB7_6 Depth=1
	s_or_b32 exec_lo, exec_lo, s39
	s_and_saveexec_b32 s6, s11
	s_cbranch_execz .LBB7_99
; %bb.98:                               ;   in Loop: Header=BB7_6 Depth=1
	v_mov_b32_e32 v1, v3
	v_mov_b32_e32 v2, v4
	s_waitcnt lgkmcnt(0)
	v_mov_b32_e32 v5, v6
	ds_write_b64 v25, v[3:4]
	ds_write_b32 v26, v6
.LBB7_99:                               ;   in Loop: Header=BB7_6 Depth=1
	s_or_b32 exec_lo, exec_lo, s6
.LBB7_100:                              ;   in Loop: Header=BB7_6 Depth=1
	s_or_b32 exec_lo, exec_lo, s7
	s_waitcnt lgkmcnt(0)
	s_barrier
	buffer_gl0_inv
	s_and_saveexec_b32 s11, s3
	s_cbranch_execz .LBB7_123
; %bb.101:                              ;   in Loop: Header=BB7_6 Depth=1
	ds_read_b64 v[3:4], v25 offset:256
	ds_read_b32 v6, v26 offset:128
	s_mov_b32 s39, exec_lo
	s_waitcnt lgkmcnt(1)
	v_cmp_lt_f64_e64 s7, v[1:2], v[3:4]
	v_cmpx_nlt_f64_e32 v[1:2], v[3:4]
	s_cbranch_execz .LBB7_103
; %bb.102:                              ;   in Loop: Header=BB7_6 Depth=1
	v_cmp_eq_f64_e32 vcc_lo, v[1:2], v[3:4]
	s_waitcnt lgkmcnt(0)
	v_cmp_gt_i32_e64 s6, v5, v6
	s_andn2_b32 s7, s7, exec_lo
	s_and_b32 s6, vcc_lo, s6
	s_and_b32 s6, s6, exec_lo
	s_or_b32 s7, s7, s6
.LBB7_103:                              ;   in Loop: Header=BB7_6 Depth=1
	s_or_b32 exec_lo, exec_lo, s39
	s_and_saveexec_b32 s6, s7
	s_cbranch_execz .LBB7_105
; %bb.104:                              ;   in Loop: Header=BB7_6 Depth=1
	v_mov_b32_e32 v1, v3
	s_waitcnt lgkmcnt(0)
	v_mov_b32_e32 v5, v6
	v_mov_b32_e32 v2, v4
	ds_write_b64 v25, v[3:4]
	ds_write_b32 v26, v6
.LBB7_105:                              ;   in Loop: Header=BB7_6 Depth=1
	s_or_b32 exec_lo, exec_lo, s6
	ds_read_b64 v[3:4], v25 offset:128
	s_waitcnt lgkmcnt(1)
	ds_read_b32 v6, v26 offset:64
	s_mov_b32 s39, exec_lo
	s_waitcnt lgkmcnt(1)
	v_cmp_lt_f64_e64 s7, v[1:2], v[3:4]
	v_cmpx_nlt_f64_e32 v[1:2], v[3:4]
	s_cbranch_execz .LBB7_107
; %bb.106:                              ;   in Loop: Header=BB7_6 Depth=1
	v_cmp_eq_f64_e32 vcc_lo, v[1:2], v[3:4]
	s_waitcnt lgkmcnt(0)
	v_cmp_gt_i32_e64 s6, v5, v6
	s_andn2_b32 s7, s7, exec_lo
	s_and_b32 s6, vcc_lo, s6
	s_and_b32 s6, s6, exec_lo
	s_or_b32 s7, s7, s6
.LBB7_107:                              ;   in Loop: Header=BB7_6 Depth=1
	s_or_b32 exec_lo, exec_lo, s39
	s_and_saveexec_b32 s6, s7
	s_cbranch_execz .LBB7_109
; %bb.108:                              ;   in Loop: Header=BB7_6 Depth=1
	v_mov_b32_e32 v1, v3
	s_waitcnt lgkmcnt(0)
	v_mov_b32_e32 v5, v6
	v_mov_b32_e32 v2, v4
	ds_write_b64 v25, v[3:4]
	ds_write_b32 v26, v6
.LBB7_109:                              ;   in Loop: Header=BB7_6 Depth=1
	s_or_b32 exec_lo, exec_lo, s6
	ds_read_b64 v[3:4], v25 offset:64
	s_waitcnt lgkmcnt(1)
	;; [unrolled: 29-line block ×5, first 2 shown]
	ds_read_b32 v6, v26 offset:4
	s_waitcnt lgkmcnt(1)
	v_cmp_eq_f64_e32 vcc_lo, v[1:2], v[3:4]
	v_cmp_lt_f64_e64 s6, v[1:2], v[3:4]
	s_waitcnt lgkmcnt(0)
	v_cmp_gt_i32_e64 s7, v5, v6
	s_and_b32 s7, vcc_lo, s7
	s_or_b32 s6, s6, s7
	s_and_b32 exec_lo, exec_lo, s6
	s_cbranch_execz .LBB7_123
; %bb.122:                              ;   in Loop: Header=BB7_6 Depth=1
	ds_write_b64 v25, v[3:4]
	ds_write_b32 v26, v6
.LBB7_123:                              ;   in Loop: Header=BB7_6 Depth=1
	s_or_b32 exec_lo, exec_lo, s11
.LBB7_124:                              ;   in Loop: Header=BB7_6 Depth=1
	s_and_saveexec_b32 s6, s0
	s_cbranch_execz .LBB7_126
; %bb.125:                              ;   in Loop: Header=BB7_6 Depth=1
	ds_read_b64 v[1:2], v9
	s_waitcnt lgkmcnt(0)
	ds_write_b64 v9, v[1:2] offset:3088
.LBB7_126:                              ;   in Loop: Header=BB7_6 Depth=1
	s_or_b32 exec_lo, exec_lo, s6
	ds_read_b32 v6, v9 offset:3096
	s_waitcnt lgkmcnt(0)
	v_cmp_gt_i32_e32 vcc_lo, 1, v6
	s_cbranch_vccnz .LBB7_171
; %bb.127:                              ;   in Loop: Header=BB7_6 Depth=1
	v_mov_b32_e32 v1, 0
	v_mov_b32_e32 v2, 0
	v_bfrev_b32_e32 v5, -2
	s_mov_b32 s11, exec_lo
	v_cmpx_lt_i32_e64 v0, v6
	s_cbranch_execz .LBB7_131
; %bb.128:                              ;   in Loop: Header=BB7_6 Depth=1
	s_lshl_b64 s[6:7], s[40:41], 4
	v_mov_b32_e32 v1, 0
	v_add_co_u32 v3, vcc_lo, v29, s6
	v_add_co_ci_u32_e64 v4, null, s7, v30, vcc_lo
	v_bfrev_b32_e32 v5, -2
	v_mov_b32_e32 v2, 0
	v_mov_b32_e32 v7, v0
	s_mov_b32 s39, 0
	s_inst_prefetch 0x1
	.p2align	6
.LBB7_129:                              ;   Parent Loop BB7_6 Depth=1
                                        ; =>  This Inner Loop Header: Depth=2
	global_load_dwordx4 v[10:13], v[3:4], off offset:-8
	v_add_co_u32 v3, s7, 0x1000, v3
	v_add_co_ci_u32_e64 v4, null, 0, v4, s7
	s_waitcnt vmcnt(0)
	v_cmp_gt_f64_e32 vcc_lo, 0, v[12:13]
	v_cmp_gt_f64_e64 s6, 0, v[10:11]
	v_xor_b32_e32 v8, 0x80000000, v11
	v_xor_b32_e32 v14, 0x80000000, v13
	v_cndmask_b32_e32 v13, v13, v14, vcc_lo
	v_cndmask_b32_e64 v11, v11, v8, s6
	v_cmp_eq_u32_e64 s6, 0x7fffffff, v5
	v_add_nc_u32_e32 v8, 1, v7
	v_add_nc_u32_e32 v7, 0x100, v7
	v_add_f64 v[10:11], v[10:11], v[12:13]
	v_cmp_ge_i32_e64 s7, v7, v6
	v_cmp_lt_f64_e32 vcc_lo, v[1:2], v[10:11]
	s_or_b32 vcc_lo, vcc_lo, s6
	s_or_b32 s39, s7, s39
	v_cndmask_b32_e32 v5, v5, v8, vcc_lo
	v_cndmask_b32_e32 v2, v2, v11, vcc_lo
	;; [unrolled: 1-line block ×3, first 2 shown]
	s_andn2_b32 exec_lo, exec_lo, s39
	s_cbranch_execnz .LBB7_129
; %bb.130:                              ;   in Loop: Header=BB7_6 Depth=1
	s_inst_prefetch 0x2
	s_or_b32 exec_lo, exec_lo, s39
.LBB7_131:                              ;   in Loop: Header=BB7_6 Depth=1
	s_or_b32 exec_lo, exec_lo, s11
	v_cmp_eq_u32_e32 vcc_lo, 1, v6
	ds_write_b64 v25, v[1:2]
	ds_write_b32 v26, v5
	s_waitcnt lgkmcnt(0)
	s_barrier
	buffer_gl0_inv
	s_cbranch_vccnz .LBB7_168
; %bb.132:                              ;   in Loop: Header=BB7_6 Depth=1
	s_and_saveexec_b32 s7, s1
	s_cbranch_execz .LBB7_138
; %bb.133:                              ;   in Loop: Header=BB7_6 Depth=1
	ds_read_b64 v[3:4], v25 offset:1024
	ds_read_b32 v6, v26 offset:512
	s_mov_b32 s39, exec_lo
	s_waitcnt lgkmcnt(1)
	v_cmp_lt_f64_e64 s11, v[1:2], v[3:4]
	v_cmpx_nlt_f64_e32 v[1:2], v[3:4]
	s_cbranch_execz .LBB7_135
; %bb.134:                              ;   in Loop: Header=BB7_6 Depth=1
	v_cmp_eq_f64_e32 vcc_lo, v[1:2], v[3:4]
	s_waitcnt lgkmcnt(0)
	v_cmp_gt_i32_e64 s6, v5, v6
	s_andn2_b32 s11, s11, exec_lo
	s_and_b32 s6, vcc_lo, s6
	s_and_b32 s6, s6, exec_lo
	s_or_b32 s11, s11, s6
.LBB7_135:                              ;   in Loop: Header=BB7_6 Depth=1
	s_or_b32 exec_lo, exec_lo, s39
	s_and_saveexec_b32 s6, s11
	s_cbranch_execz .LBB7_137
; %bb.136:                              ;   in Loop: Header=BB7_6 Depth=1
	v_mov_b32_e32 v1, v3
	v_mov_b32_e32 v2, v4
	s_waitcnt lgkmcnt(0)
	v_mov_b32_e32 v5, v6
	ds_write_b64 v25, v[3:4]
	ds_write_b32 v26, v6
.LBB7_137:                              ;   in Loop: Header=BB7_6 Depth=1
	s_or_b32 exec_lo, exec_lo, s6
.LBB7_138:                              ;   in Loop: Header=BB7_6 Depth=1
	s_or_b32 exec_lo, exec_lo, s7
	s_waitcnt lgkmcnt(0)
	s_barrier
	buffer_gl0_inv
	s_and_saveexec_b32 s7, s2
	s_cbranch_execz .LBB7_144
; %bb.139:                              ;   in Loop: Header=BB7_6 Depth=1
	ds_read_b64 v[3:4], v25 offset:512
	ds_read_b32 v6, v26 offset:256
	s_mov_b32 s39, exec_lo
	s_waitcnt lgkmcnt(1)
	v_cmp_lt_f64_e64 s11, v[1:2], v[3:4]
	v_cmpx_nlt_f64_e32 v[1:2], v[3:4]
	s_cbranch_execz .LBB7_141
; %bb.140:                              ;   in Loop: Header=BB7_6 Depth=1
	v_cmp_eq_f64_e32 vcc_lo, v[1:2], v[3:4]
	s_waitcnt lgkmcnt(0)
	v_cmp_gt_i32_e64 s6, v5, v6
	s_andn2_b32 s11, s11, exec_lo
	s_and_b32 s6, vcc_lo, s6
	s_and_b32 s6, s6, exec_lo
	s_or_b32 s11, s11, s6
.LBB7_141:                              ;   in Loop: Header=BB7_6 Depth=1
	s_or_b32 exec_lo, exec_lo, s39
	s_and_saveexec_b32 s6, s11
	s_cbranch_execz .LBB7_143
; %bb.142:                              ;   in Loop: Header=BB7_6 Depth=1
	v_mov_b32_e32 v1, v3
	v_mov_b32_e32 v2, v4
	s_waitcnt lgkmcnt(0)
	v_mov_b32_e32 v5, v6
	ds_write_b64 v25, v[3:4]
	ds_write_b32 v26, v6
.LBB7_143:                              ;   in Loop: Header=BB7_6 Depth=1
	s_or_b32 exec_lo, exec_lo, s6
.LBB7_144:                              ;   in Loop: Header=BB7_6 Depth=1
	s_or_b32 exec_lo, exec_lo, s7
	s_waitcnt lgkmcnt(0)
	s_barrier
	buffer_gl0_inv
	s_and_saveexec_b32 s11, s3
	s_cbranch_execz .LBB7_167
; %bb.145:                              ;   in Loop: Header=BB7_6 Depth=1
	ds_read_b64 v[3:4], v25 offset:256
	ds_read_b32 v6, v26 offset:128
	s_mov_b32 s39, exec_lo
	s_waitcnt lgkmcnt(1)
	v_cmp_lt_f64_e64 s7, v[1:2], v[3:4]
	v_cmpx_nlt_f64_e32 v[1:2], v[3:4]
	s_cbranch_execz .LBB7_147
; %bb.146:                              ;   in Loop: Header=BB7_6 Depth=1
	v_cmp_eq_f64_e32 vcc_lo, v[1:2], v[3:4]
	s_waitcnt lgkmcnt(0)
	v_cmp_gt_i32_e64 s6, v5, v6
	s_andn2_b32 s7, s7, exec_lo
	s_and_b32 s6, vcc_lo, s6
	s_and_b32 s6, s6, exec_lo
	s_or_b32 s7, s7, s6
.LBB7_147:                              ;   in Loop: Header=BB7_6 Depth=1
	s_or_b32 exec_lo, exec_lo, s39
	s_and_saveexec_b32 s6, s7
	s_cbranch_execz .LBB7_149
; %bb.148:                              ;   in Loop: Header=BB7_6 Depth=1
	v_mov_b32_e32 v1, v3
	s_waitcnt lgkmcnt(0)
	v_mov_b32_e32 v5, v6
	v_mov_b32_e32 v2, v4
	ds_write_b64 v25, v[3:4]
	ds_write_b32 v26, v6
.LBB7_149:                              ;   in Loop: Header=BB7_6 Depth=1
	s_or_b32 exec_lo, exec_lo, s6
	ds_read_b64 v[3:4], v25 offset:128
	s_waitcnt lgkmcnt(1)
	ds_read_b32 v6, v26 offset:64
	s_mov_b32 s39, exec_lo
	s_waitcnt lgkmcnt(1)
	v_cmp_lt_f64_e64 s7, v[1:2], v[3:4]
	v_cmpx_nlt_f64_e32 v[1:2], v[3:4]
	s_cbranch_execz .LBB7_151
; %bb.150:                              ;   in Loop: Header=BB7_6 Depth=1
	v_cmp_eq_f64_e32 vcc_lo, v[1:2], v[3:4]
	s_waitcnt lgkmcnt(0)
	v_cmp_gt_i32_e64 s6, v5, v6
	s_andn2_b32 s7, s7, exec_lo
	s_and_b32 s6, vcc_lo, s6
	s_and_b32 s6, s6, exec_lo
	s_or_b32 s7, s7, s6
.LBB7_151:                              ;   in Loop: Header=BB7_6 Depth=1
	s_or_b32 exec_lo, exec_lo, s39
	s_and_saveexec_b32 s6, s7
	s_cbranch_execz .LBB7_153
; %bb.152:                              ;   in Loop: Header=BB7_6 Depth=1
	v_mov_b32_e32 v1, v3
	s_waitcnt lgkmcnt(0)
	v_mov_b32_e32 v5, v6
	v_mov_b32_e32 v2, v4
	ds_write_b64 v25, v[3:4]
	ds_write_b32 v26, v6
.LBB7_153:                              ;   in Loop: Header=BB7_6 Depth=1
	s_or_b32 exec_lo, exec_lo, s6
	ds_read_b64 v[3:4], v25 offset:64
	s_waitcnt lgkmcnt(1)
	;; [unrolled: 29-line block ×5, first 2 shown]
	ds_read_b32 v6, v26 offset:4
	s_waitcnt lgkmcnt(1)
	v_cmp_eq_f64_e32 vcc_lo, v[1:2], v[3:4]
	v_cmp_lt_f64_e64 s6, v[1:2], v[3:4]
	s_waitcnt lgkmcnt(0)
	v_cmp_gt_i32_e64 s7, v5, v6
	s_and_b32 s7, vcc_lo, s7
	s_or_b32 s6, s6, s7
	s_and_b32 exec_lo, exec_lo, s6
	s_cbranch_execz .LBB7_167
; %bb.166:                              ;   in Loop: Header=BB7_6 Depth=1
	ds_write_b64 v25, v[3:4]
	ds_write_b32 v26, v6
.LBB7_167:                              ;   in Loop: Header=BB7_6 Depth=1
	s_or_b32 exec_lo, exec_lo, s11
.LBB7_168:                              ;   in Loop: Header=BB7_6 Depth=1
	s_and_saveexec_b32 s6, s0
	s_cbranch_execz .LBB7_170
; %bb.169:                              ;   in Loop: Header=BB7_6 Depth=1
	ds_read_b64 v[1:2], v9 offset:3088
	ds_read_b64 v[3:4], v9
	s_waitcnt lgkmcnt(0)
	v_cmp_lt_f64_e32 vcc_lo, v[1:2], v[3:4]
	v_cndmask_b32_e32 v2, v2, v4, vcc_lo
	v_cndmask_b32_e32 v1, v1, v3, vcc_lo
	ds_write_b64 v9, v[1:2] offset:3088
.LBB7_170:                              ;   in Loop: Header=BB7_6 Depth=1
	s_or_b32 exec_lo, exec_lo, s6
.LBB7_171:                              ;   in Loop: Header=BB7_6 Depth=1
	s_waitcnt lgkmcnt(0)
	s_barrier
	buffer_gl0_inv
	ds_read_b128 v[3:6], v9 offset:3072
	ds_read_b64 v[1:2], v9 offset:3088
	s_waitcnt lgkmcnt(0)
	v_div_scale_f64 v[7:8], null, v[1:2], v[1:2], v[5:6]
	v_rcp_f64_e32 v[10:11], v[7:8]
	v_fma_f64 v[12:13], -v[7:8], v[10:11], 1.0
	v_fma_f64 v[10:11], v[10:11], v[12:13], v[10:11]
	v_fma_f64 v[12:13], -v[7:8], v[10:11], 1.0
	v_fma_f64 v[10:11], v[10:11], v[12:13], v[10:11]
	v_div_scale_f64 v[12:13], vcc_lo, v[5:6], v[1:2], v[5:6]
	v_mul_f64 v[14:15], v[12:13], v[10:11]
	v_fma_f64 v[7:8], -v[7:8], v[14:15], v[12:13]
	v_div_fmas_f64 v[7:8], v[7:8], v[10:11], v[14:15]
	v_mul_f64 v[10:11], v[5:6], s[36:37]
	v_div_fixup_f64 v[5:6], v[7:8], v[1:2], v[5:6]
	v_mul_f64 v[5:6], v[10:11], v[5:6]
	v_cmp_ge_f64_e32 vcc_lo, v[3:4], v[5:6]
	s_cbranch_vccnz .LBB7_177
; %bb.172:                              ;   in Loop: Header=BB7_6 Depth=1
	ds_read_b32 v7, v9 offset:3096
	v_mul_f64 v[1:2], v[1:2], s[36:37]
	s_waitcnt lgkmcnt(0)
	v_readfirstlane_b32 s6, v7
	s_add_i32 s6, s6, s40
	s_ashr_i32 s7, s6, 31
	s_lshl_b64 s[6:7], s[6:7], 4
	s_add_u32 s6, s46, s6
	s_addc_u32 s7, s47, s7
	global_load_dwordx4 v[3:6], v9, s[6:7]
	v_readfirstlane_b32 s6, v7
	s_waitcnt vmcnt(0)
	v_cmp_gt_f64_e32 vcc_lo, 0, v[3:4]
	v_xor_b32_e32 v8, 0x80000000, v4
	v_xor_b32_e32 v10, 0x80000000, v6
	v_cndmask_b32_e32 v4, v4, v8, vcc_lo
	v_cmp_gt_f64_e32 vcc_lo, 0, v[5:6]
	v_cndmask_b32_e32 v6, v6, v10, vcc_lo
	v_add_f64 v[3:4], v[3:4], v[5:6]
	v_cmp_nge_f64_e32 vcc_lo, v[3:4], v[1:2]
	s_cbranch_vccnz .LBB7_197
; %bb.173:                              ;   in Loop: Header=BB7_6 Depth=1
	s_and_saveexec_b32 s7, s5
	s_cbranch_execz .LBB7_176
; %bb.174:                              ;   in Loop: Header=BB7_6 Depth=1
	v_add_nc_u32_e32 v1, s38, v0
	v_add_nc_u32_e32 v3, s40, v0
	v_mov_b32_e32 v5, v0
	s_mov_b32 s11, 0
	v_ashrrev_i32_e32 v2, 31, v1
	v_ashrrev_i32_e32 v4, 31, v3
	v_lshlrev_b64 v[1:2], 4, v[1:2]
	v_lshlrev_b64 v[3:4], 4, v[3:4]
	v_add_co_u32 v1, vcc_lo, s46, v1
	v_add_co_ci_u32_e64 v2, null, s47, v2, vcc_lo
	v_add_co_u32 v3, vcc_lo, s46, v3
	v_add_co_ci_u32_e64 v4, null, s47, v4, vcc_lo
	.p2align	6
.LBB7_175:                              ;   Parent Loop BB7_6 Depth=1
                                        ; =>  This Inner Loop Header: Depth=2
	global_load_dwordx4 v[10:13], v[3:4], off
	v_add_nc_u32_e32 v5, 0x100, v5
	v_add_co_u32 v3, vcc_lo, 0x1000, v3
	v_add_co_ci_u32_e64 v4, null, 0, v4, vcc_lo
	v_cmp_lt_i32_e32 vcc_lo, s10, v5
	s_or_b32 s11, vcc_lo, s11
	s_waitcnt vmcnt(0)
	global_store_dwordx4 v[1:2], v[10:13], off
	v_add_co_u32 v1, s5, 0x1000, v1
	v_add_co_ci_u32_e64 v2, null, 0, v2, s5
	s_andn2_b32 exec_lo, exec_lo, s11
	s_cbranch_execnz .LBB7_175
.LBB7_176:                              ;   in Loop: Header=BB7_6 Depth=1
	s_or_b32 exec_lo, exec_lo, s7
	s_mov_b32 s7, -1
	s_mov_b32 s39, -1
	s_waitcnt_vscnt null, 0x0
	s_barrier
	buffer_gl0_inv
	s_add_i32 s11, s39, s10
	s_add_i32 s40, s11, 1
	s_cmp_eq_u32 s6, s40
	s_cbranch_scc0 .LBB7_178
	s_branch .LBB7_193
.LBB7_177:                              ;   in Loop: Header=BB7_6 Depth=1
	s_mov_b32 s7, -1
	s_mov_b32 s39, -1
	s_mov_b32 s6, s10
	s_add_i32 s11, s39, s10
	s_add_i32 s40, s11, 1
	s_cmp_eq_u32 s6, s40
	s_cbranch_scc1 .LBB7_193
.LBB7_178:                              ;   in Loop: Header=BB7_6 Depth=1
	s_and_saveexec_b32 s5, s0
	s_cbranch_execz .LBB7_180
; %bb.179:                              ;   in Loop: Header=BB7_6 Depth=1
	s_mul_i32 s62, s40, s49
	s_ashr_i32 s63, s62, 31
	s_lshl_b64 s[62:63], s[62:63], 4
	s_add_u32 s62, s20, s62
	s_addc_u32 s63, s33, s63
	global_load_dwordx4 v[1:4], v9, s[62:63]
	s_mul_i32 s62, s6, s49
	s_ashr_i32 s63, s62, 31
	s_lshl_b64 s[62:63], s[62:63], 4
	s_add_u32 s62, s20, s62
	s_addc_u32 s63, s33, s63
	s_waitcnt vmcnt(0)
	global_store_dwordx4 v9, v[1:4], s[62:63]
.LBB7_180:                              ;   in Loop: Header=BB7_6 Depth=1
	s_or_b32 exec_lo, exec_lo, s5
	s_sub_i32 s41, s11, s6
	s_mov_b32 s62, exec_lo
	v_cmpx_gt_i32_e64 s41, v0
	s_cbranch_execz .LBB7_183
; %bb.181:                              ;   in Loop: Header=BB7_6 Depth=1
	v_add_nc_u32_e32 v1, s6, v20
	s_mul_i32 s5, s40, s21
	v_mov_b32_e32 v3, v0
	s_add_i32 s63, s6, s5
	s_mov_b32 s64, 0
	v_mad_u64_u32 v[1:2], null, s21, v1, s[6:7]
	s_add_i32 s63, s63, 1
	.p2align	6
.LBB7_182:                              ;   Parent Loop BB7_6 Depth=1
                                        ; =>  This Inner Loop Header: Depth=2
	v_add_nc_u32_e32 v4, s63, v3
	v_ashrrev_i32_e32 v2, 31, v1
	v_add_nc_u32_e32 v3, 0x100, v3
	v_ashrrev_i32_e32 v5, 31, v4
	v_lshlrev_b64 v[10:11], 4, v[1:2]
	v_add_nc_u32_e32 v1, s55, v1
	v_lshlrev_b64 v[4:5], 4, v[4:5]
	v_add_co_u32 v10, s5, s20, v10
	v_add_co_ci_u32_e64 v11, null, s33, v11, s5
	v_add_co_u32 v4, vcc_lo, s20, v4
	v_add_co_ci_u32_e64 v5, null, s33, v5, vcc_lo
	v_cmp_le_i32_e32 vcc_lo, s41, v3
	global_load_dwordx4 v[4:7], v[4:5], off
	s_or_b32 s64, vcc_lo, s64
	s_waitcnt vmcnt(0)
	global_store_dwordx4 v[10:11], v[4:7], off
	s_andn2_b32 exec_lo, exec_lo, s64
	s_cbranch_execnz .LBB7_182
.LBB7_183:                              ;   in Loop: Header=BB7_6 Depth=1
	s_or_b32 exec_lo, exec_lo, s62
	s_mov_b32 s41, exec_lo
	v_cmpx_gt_i32_e64 s6, v0
	s_cbranch_execz .LBB7_186
; %bb.184:                              ;   in Loop: Header=BB7_6 Depth=1
	v_mad_u64_u32 v[1:2], null, s6, s21, v[0:1]
	v_mov_b32_e32 v5, v0
	s_mov_b32 s62, 0
	v_mad_u64_u32 v[3:4], null, s40, s21, v[0:1]
	v_ashrrev_i32_e32 v2, 31, v1
	v_lshlrev_b64 v[1:2], 4, v[1:2]
	v_ashrrev_i32_e32 v4, 31, v3
	v_add_co_u32 v1, vcc_lo, s51, v1
	v_lshlrev_b64 v[3:4], 4, v[3:4]
	v_add_co_ci_u32_e64 v2, null, s52, v2, vcc_lo
	v_add_co_u32 v3, vcc_lo, s51, v3
	v_add_co_ci_u32_e64 v4, null, s52, v4, vcc_lo
	.p2align	6
.LBB7_185:                              ;   Parent Loop BB7_6 Depth=1
                                        ; =>  This Inner Loop Header: Depth=2
	global_load_dwordx4 v[10:13], v[3:4], off
	v_add_nc_u32_e32 v5, 0x100, v5
	v_add_co_u32 v3, vcc_lo, 0x1000, v3
	v_add_co_ci_u32_e64 v4, null, 0, v4, vcc_lo
	v_cmp_le_i32_e32 vcc_lo, s6, v5
	s_or_b32 s62, vcc_lo, s62
	s_waitcnt vmcnt(0)
	global_store_dwordx4 v[1:2], v[10:13], off
	v_add_co_u32 v1, s5, 0x1000, v1
	v_add_co_ci_u32_e64 v2, null, 0, v2, s5
	s_andn2_b32 exec_lo, exec_lo, s62
	s_cbranch_execnz .LBB7_185
.LBB7_186:                              ;   in Loop: Header=BB7_6 Depth=1
	s_or_b32 exec_lo, exec_lo, s41
	s_not_b32 s5, s10
	s_mov_b32 s41, exec_lo
	s_add_i32 s5, s22, s5
	s_waitcnt_vscnt null, 0x0
	s_barrier
	buffer_gl0_inv
	v_cmpx_gt_i32_e64 s5, v0
	s_cbranch_execz .LBB7_189
; %bb.187:                              ;   in Loop: Header=BB7_6 Depth=1
	v_add_nc_u32_e32 v1, s10, v20
	v_mov_b32_e32 v2, v0
	s_ashr_i32 s62, s11, 31
	s_mov_b32 s63, 0
	v_mul_lo_u32 v1, s21, v1
	s_inst_prefetch 0x1
	.p2align	6
.LBB7_188:                              ;   Parent Loop BB7_6 Depth=1
                                        ; =>  This Inner Loop Header: Depth=2
	v_ashrrev_i32_e32 v4, 31, v1
	v_add_nc_u32_e32 v3, s6, v1
	v_add_co_u32 v5, vcc_lo, v1, s11
	v_add_nc_u32_e32 v2, 0x100, v2
	v_add_co_ci_u32_e64 v6, null, s62, v4, vcc_lo
	v_ashrrev_i32_e32 v4, 31, v3
	v_add_nc_u32_e32 v1, s55, v1
	v_lshlrev_b64 v[5:6], 4, v[5:6]
	v_lshlrev_b64 v[3:4], 4, v[3:4]
	v_add_co_u32 v7, vcc_lo, s20, v5
	v_add_co_ci_u32_e64 v8, null, s33, v6, vcc_lo
	v_add_co_u32 v14, vcc_lo, s20, v3
	v_add_co_ci_u32_e64 v15, null, s33, v4, vcc_lo
	s_clause 0x1
	global_load_dwordx4 v[3:6], v[7:8], off offset:16
	global_load_dwordx4 v[10:13], v[14:15], off
	v_cmp_le_i32_e32 vcc_lo, s5, v2
	s_or_b32 s63, vcc_lo, s63
	s_waitcnt vmcnt(1)
	ds_write2_b64 v24, v[3:4], v[5:6] offset1:1
	s_waitcnt vmcnt(0)
	global_store_dwordx4 v[7:8], v[10:13], off offset:16
	global_store_dwordx4 v[14:15], v[3:6], off
	s_andn2_b32 exec_lo, exec_lo, s63
	s_cbranch_execnz .LBB7_188
.LBB7_189:                              ;   in Loop: Header=BB7_6 Depth=1
	s_inst_prefetch 0x2
	s_or_b32 exec_lo, exec_lo, s41
	s_sub_i32 s5, s22, s40
	s_mov_b32 s40, exec_lo
	v_cmpx_gt_i32_e64 s5, v0
	s_cbranch_execz .LBB7_192
; %bb.190:                              ;   in Loop: Header=BB7_6 Depth=1
	v_add3_u32 v1, s10, s39, v33
	v_mov_b32_e32 v2, v0
	s_ashr_i32 s39, s11, 31
	s_mov_b32 s41, 0
	v_mul_lo_u32 v1, s22, v1
	s_inst_prefetch 0x1
	.p2align	6
.LBB7_191:                              ;   Parent Loop BB7_6 Depth=1
                                        ; =>  This Inner Loop Header: Depth=2
	v_ashrrev_i32_e32 v4, 31, v1
	v_add_nc_u32_e32 v3, s6, v1
	v_add_co_u32 v5, vcc_lo, v1, s11
	v_add_nc_u32_e32 v2, 0x100, v2
	v_add_co_ci_u32_e64 v6, null, s39, v4, vcc_lo
	v_ashrrev_i32_e32 v4, 31, v3
	v_add_nc_u32_e32 v1, s56, v1
	v_lshlrev_b64 v[5:6], 4, v[5:6]
	v_lshlrev_b64 v[3:4], 4, v[3:4]
	v_add_co_u32 v7, vcc_lo, s46, v5
	v_add_co_ci_u32_e64 v8, null, s47, v6, vcc_lo
	v_add_co_u32 v14, vcc_lo, s46, v3
	v_add_co_ci_u32_e64 v15, null, s47, v4, vcc_lo
	s_clause 0x1
	global_load_dwordx4 v[3:6], v[7:8], off offset:16
	global_load_dwordx4 v[10:13], v[14:15], off
	v_cmp_le_i32_e32 vcc_lo, s5, v2
	s_or_b32 s41, vcc_lo, s41
	s_waitcnt vmcnt(1)
	ds_write2_b64 v23, v[3:4], v[5:6] offset1:1
	s_waitcnt vmcnt(0)
	global_store_dwordx4 v[7:8], v[10:13], off offset:16
	global_store_dwordx4 v[14:15], v[3:6], off
	s_andn2_b32 exec_lo, exec_lo, s41
	s_cbranch_execnz .LBB7_191
.LBB7_192:                              ;   in Loop: Header=BB7_6 Depth=1
	s_inst_prefetch 0x2
	s_or_b32 exec_lo, exec_lo, s40
	s_waitcnt lgkmcnt(0)
	s_waitcnt_vscnt null, 0x0
	s_barrier
	buffer_gl0_inv
.LBB7_193:                              ;   in Loop: Header=BB7_6 Depth=1
	s_xor_b32 s5, s7, -1
	s_mov_b32 s11, -1
	s_and_b32 vcc_lo, exec_lo, s5
	s_cbranch_vccz .LBB7_215
; %bb.194:                              ;   in Loop: Header=BB7_6 Depth=1
	s_cmp_lt_i32 s10, 2
	s_cbranch_scc1 .LBB7_212
; %bb.195:                              ;   in Loop: Header=BB7_6 Depth=1
	s_ashr_i32 s5, s38, 31
	s_ashr_i32 s7, s10, 31
	s_add_u32 s40, s38, s10
	s_addc_u32 s41, s5, s7
	s_lshl_b64 s[40:41], s[40:41], 4
	s_add_u32 s40, s46, s40
	s_addc_u32 s41, s47, s41
	global_load_dwordx4 v[1:4], v9, s[40:41] offset:-16
	s_add_i32 s40, s38, s10
	s_ashr_i32 s41, s40, 31
	s_lshl_b64 s[40:41], s[40:41], 4
	s_add_u32 s40, s46, s40
	s_addc_u32 s41, s47, s41
	global_load_dwordx4 v[5:8], v9, s[40:41]
	s_waitcnt vmcnt(1)
	v_cmp_ngt_f64_e64 s11, |v[1:2]|, |v[3:4]|
	s_and_b32 vcc_lo, exec_lo, s11
	s_cbranch_vccz .LBB7_198
; %bb.196:                              ;   in Loop: Header=BB7_6 Depth=1
	v_div_scale_f64 v[10:11], null, v[3:4], v[3:4], v[1:2]
	v_div_scale_f64 v[16:17], vcc_lo, v[1:2], v[3:4], v[1:2]
	v_rcp_f64_e32 v[12:13], v[10:11]
	v_fma_f64 v[14:15], -v[10:11], v[12:13], 1.0
	v_fma_f64 v[12:13], v[12:13], v[14:15], v[12:13]
	v_fma_f64 v[14:15], -v[10:11], v[12:13], 1.0
	v_fma_f64 v[12:13], v[12:13], v[14:15], v[12:13]
	v_mul_f64 v[14:15], v[16:17], v[12:13]
	v_fma_f64 v[10:11], -v[10:11], v[14:15], v[16:17]
	v_div_fmas_f64 v[10:11], v[10:11], v[12:13], v[14:15]
	v_div_fixup_f64 v[10:11], v[10:11], v[3:4], v[1:2]
	v_fma_f64 v[12:13], v[1:2], v[10:11], v[3:4]
	v_div_scale_f64 v[14:15], null, v[12:13], v[12:13], 1.0
	v_div_scale_f64 v[34:35], vcc_lo, 1.0, v[12:13], 1.0
	v_rcp_f64_e32 v[16:17], v[14:15]
	v_fma_f64 v[18:19], -v[14:15], v[16:17], 1.0
	v_fma_f64 v[16:17], v[16:17], v[18:19], v[16:17]
	v_fma_f64 v[18:19], -v[14:15], v[16:17], 1.0
	v_fma_f64 v[16:17], v[16:17], v[18:19], v[16:17]
	v_mul_f64 v[18:19], v[34:35], v[16:17]
	v_fma_f64 v[14:15], -v[14:15], v[18:19], v[34:35]
	v_div_fmas_f64 v[14:15], v[14:15], v[16:17], v[18:19]
	s_waitcnt vmcnt(0)
	v_fma_f64 v[16:17], v[10:11], v[5:6], v[7:8]
	v_div_fixup_f64 v[12:13], v[14:15], v[12:13], 1.0
	v_fma_f64 v[14:15], v[10:11], v[7:8], -v[5:6]
	v_mul_f64 v[10:11], v[16:17], v[12:13]
	v_mul_f64 v[12:13], v[12:13], v[14:15]
	s_cbranch_execz .LBB7_199
	s_branch .LBB7_200
.LBB7_197:                              ;   in Loop: Header=BB7_6 Depth=1
	s_mov_b32 s7, 0
	s_mov_b32 s39, -2
	s_add_i32 s11, s39, s10
	s_add_i32 s40, s11, 1
	s_cmp_eq_u32 s6, s40
	s_cbranch_scc0 .LBB7_178
	s_branch .LBB7_193
.LBB7_198:                              ;   in Loop: Header=BB7_6 Depth=1
                                        ; implicit-def: $vgpr10_vgpr11
                                        ; implicit-def: $vgpr12_vgpr13
.LBB7_199:                              ;   in Loop: Header=BB7_6 Depth=1
	v_div_scale_f64 v[10:11], null, v[1:2], v[1:2], v[3:4]
	v_div_scale_f64 v[16:17], vcc_lo, v[3:4], v[1:2], v[3:4]
	v_rcp_f64_e32 v[12:13], v[10:11]
	v_fma_f64 v[14:15], -v[10:11], v[12:13], 1.0
	v_fma_f64 v[12:13], v[12:13], v[14:15], v[12:13]
	v_fma_f64 v[14:15], -v[10:11], v[12:13], 1.0
	v_fma_f64 v[12:13], v[12:13], v[14:15], v[12:13]
	v_mul_f64 v[14:15], v[16:17], v[12:13]
	v_fma_f64 v[10:11], -v[10:11], v[14:15], v[16:17]
	v_div_fmas_f64 v[10:11], v[10:11], v[12:13], v[14:15]
	v_div_fixup_f64 v[10:11], v[10:11], v[1:2], v[3:4]
	v_fma_f64 v[12:13], v[3:4], v[10:11], v[1:2]
	v_div_scale_f64 v[14:15], null, v[12:13], v[12:13], 1.0
	v_div_scale_f64 v[34:35], vcc_lo, 1.0, v[12:13], 1.0
	v_rcp_f64_e32 v[16:17], v[14:15]
	v_fma_f64 v[18:19], -v[14:15], v[16:17], 1.0
	v_fma_f64 v[16:17], v[16:17], v[18:19], v[16:17]
	v_fma_f64 v[18:19], -v[14:15], v[16:17], 1.0
	v_fma_f64 v[16:17], v[16:17], v[18:19], v[16:17]
	v_mul_f64 v[18:19], v[34:35], v[16:17]
	v_fma_f64 v[14:15], -v[14:15], v[18:19], v[34:35]
	v_div_fmas_f64 v[14:15], v[14:15], v[16:17], v[18:19]
	s_waitcnt vmcnt(0)
	v_fma_f64 v[16:17], v[10:11], v[7:8], v[5:6]
	v_fma_f64 v[5:6], -v[10:11], v[5:6], v[7:8]
	v_div_fixup_f64 v[12:13], v[14:15], v[12:13], 1.0
	v_mul_f64 v[10:11], v[12:13], v[16:17]
	v_mul_f64 v[12:13], v[5:6], v[12:13]
.LBB7_200:                              ;   in Loop: Header=BB7_6 Depth=1
	s_add_i32 s5, s61, -1
	s_mul_i32 s5, s5, s22
	s_ashr_i32 s39, s5, 31
	s_add_u32 s40, s5, s10
	s_addc_u32 s41, s39, s7
	s_lshl_b64 s[40:41], s[40:41], 4
	s_add_u32 s40, s46, s40
	s_addc_u32 s41, s47, s41
	s_and_b32 vcc_lo, exec_lo, s11
	global_load_dwordx4 v[5:8], v9, s[40:41] offset:-16
	s_cbranch_vccz .LBB7_202
; %bb.201:                              ;   in Loop: Header=BB7_6 Depth=1
	v_div_scale_f64 v[14:15], null, v[3:4], v[3:4], v[1:2]
	v_div_scale_f64 v[34:35], vcc_lo, v[1:2], v[3:4], v[1:2]
	v_rcp_f64_e32 v[16:17], v[14:15]
	v_fma_f64 v[18:19], -v[14:15], v[16:17], 1.0
	v_fma_f64 v[16:17], v[16:17], v[18:19], v[16:17]
	v_fma_f64 v[18:19], -v[14:15], v[16:17], 1.0
	v_fma_f64 v[16:17], v[16:17], v[18:19], v[16:17]
	v_mul_f64 v[18:19], v[34:35], v[16:17]
	v_fma_f64 v[14:15], -v[14:15], v[18:19], v[34:35]
	v_div_fmas_f64 v[14:15], v[14:15], v[16:17], v[18:19]
	v_div_fixup_f64 v[14:15], v[14:15], v[3:4], v[1:2]
	v_fma_f64 v[16:17], v[1:2], v[14:15], v[3:4]
	v_div_scale_f64 v[18:19], null, v[16:17], v[16:17], 1.0
	v_div_scale_f64 v[38:39], vcc_lo, 1.0, v[16:17], 1.0
	v_rcp_f64_e32 v[34:35], v[18:19]
	v_fma_f64 v[36:37], -v[18:19], v[34:35], 1.0
	v_fma_f64 v[34:35], v[34:35], v[36:37], v[34:35]
	v_fma_f64 v[36:37], -v[18:19], v[34:35], 1.0
	v_fma_f64 v[34:35], v[34:35], v[36:37], v[34:35]
	v_mul_f64 v[36:37], v[38:39], v[34:35]
	v_fma_f64 v[18:19], -v[18:19], v[36:37], v[38:39]
	v_div_fmas_f64 v[18:19], v[18:19], v[34:35], v[36:37]
	s_waitcnt vmcnt(0)
	v_fma_f64 v[34:35], v[14:15], v[5:6], v[7:8]
	v_div_fixup_f64 v[16:17], v[18:19], v[16:17], 1.0
	v_fma_f64 v[18:19], v[14:15], v[7:8], -v[5:6]
	v_mul_f64 v[14:15], v[16:17], v[34:35]
	v_mul_f64 v[16:17], v[16:17], v[18:19]
	s_cbranch_execz .LBB7_203
	s_branch .LBB7_204
.LBB7_202:                              ;   in Loop: Header=BB7_6 Depth=1
                                        ; implicit-def: $vgpr14_vgpr15
                                        ; implicit-def: $vgpr16_vgpr17
.LBB7_203:                              ;   in Loop: Header=BB7_6 Depth=1
	v_div_scale_f64 v[14:15], null, v[1:2], v[1:2], v[3:4]
	v_div_scale_f64 v[34:35], vcc_lo, v[3:4], v[1:2], v[3:4]
	v_rcp_f64_e32 v[16:17], v[14:15]
	v_fma_f64 v[18:19], -v[14:15], v[16:17], 1.0
	v_fma_f64 v[16:17], v[16:17], v[18:19], v[16:17]
	v_fma_f64 v[18:19], -v[14:15], v[16:17], 1.0
	v_fma_f64 v[16:17], v[16:17], v[18:19], v[16:17]
	v_mul_f64 v[18:19], v[34:35], v[16:17]
	v_fma_f64 v[14:15], -v[14:15], v[18:19], v[34:35]
	v_div_fmas_f64 v[14:15], v[14:15], v[16:17], v[18:19]
	v_div_fixup_f64 v[14:15], v[14:15], v[1:2], v[3:4]
	v_fma_f64 v[16:17], v[3:4], v[14:15], v[1:2]
	v_div_scale_f64 v[18:19], null, v[16:17], v[16:17], 1.0
	v_div_scale_f64 v[38:39], vcc_lo, 1.0, v[16:17], 1.0
	v_rcp_f64_e32 v[34:35], v[18:19]
	v_fma_f64 v[36:37], -v[18:19], v[34:35], 1.0
	v_fma_f64 v[34:35], v[34:35], v[36:37], v[34:35]
	v_fma_f64 v[36:37], -v[18:19], v[34:35], 1.0
	v_fma_f64 v[34:35], v[34:35], v[36:37], v[34:35]
	v_mul_f64 v[36:37], v[38:39], v[34:35]
	v_fma_f64 v[18:19], -v[18:19], v[36:37], v[38:39]
	v_div_fmas_f64 v[18:19], v[18:19], v[34:35], v[36:37]
	s_waitcnt vmcnt(0)
	v_fma_f64 v[34:35], v[14:15], v[7:8], v[5:6]
	v_fma_f64 v[5:6], -v[14:15], v[5:6], v[7:8]
	v_div_fixup_f64 v[16:17], v[18:19], v[16:17], 1.0
	v_mul_f64 v[14:15], v[16:17], v[34:35]
	v_mul_f64 v[16:17], v[16:17], v[5:6]
.LBB7_204:                              ;   in Loop: Header=BB7_6 Depth=1
	s_waitcnt vmcnt(0)
	v_mul_f64 v[5:6], v[12:13], v[16:17]
	v_mul_f64 v[7:8], v[12:13], v[14:15]
	v_fma_f64 v[5:6], v[10:11], v[14:15], -v[5:6]
	v_fma_f64 v[7:8], v[10:11], v[16:17], v[7:8]
	v_add_f64 v[5:6], v[5:6], -1.0
	v_mul_f64 v[18:19], v[3:4], v[7:8]
	v_mul_f64 v[3:4], v[3:4], v[5:6]
	v_fma_f64 v[5:6], v[1:2], v[5:6], -v[18:19]
	v_fma_f64 v[7:8], v[1:2], v[7:8], v[3:4]
	v_cmp_ngt_f64_e64 s7, |v[5:6]|, |v[7:8]|
	s_and_b32 vcc_lo, exec_lo, s7
	s_cbranch_vccz .LBB7_206
; %bb.205:                              ;   in Loop: Header=BB7_6 Depth=1
	v_div_scale_f64 v[1:2], null, v[7:8], v[7:8], v[5:6]
	v_div_scale_f64 v[34:35], vcc_lo, v[5:6], v[7:8], v[5:6]
	v_rcp_f64_e32 v[3:4], v[1:2]
	v_fma_f64 v[18:19], -v[1:2], v[3:4], 1.0
	v_fma_f64 v[3:4], v[3:4], v[18:19], v[3:4]
	v_fma_f64 v[18:19], -v[1:2], v[3:4], 1.0
	v_fma_f64 v[3:4], v[3:4], v[18:19], v[3:4]
	v_mul_f64 v[18:19], v[34:35], v[3:4]
	v_fma_f64 v[1:2], -v[1:2], v[18:19], v[34:35]
	v_div_fmas_f64 v[1:2], v[1:2], v[3:4], v[18:19]
	v_div_fixup_f64 v[1:2], v[1:2], v[7:8], v[5:6]
	v_fma_f64 v[3:4], v[5:6], v[1:2], v[7:8]
	v_div_scale_f64 v[18:19], null, v[3:4], v[3:4], 1.0
	v_div_scale_f64 v[38:39], vcc_lo, 1.0, v[3:4], 1.0
	v_rcp_f64_e32 v[34:35], v[18:19]
	v_fma_f64 v[36:37], -v[18:19], v[34:35], 1.0
	v_fma_f64 v[34:35], v[34:35], v[36:37], v[34:35]
	v_fma_f64 v[36:37], -v[18:19], v[34:35], 1.0
	v_fma_f64 v[34:35], v[34:35], v[36:37], v[34:35]
	v_mul_f64 v[36:37], v[38:39], v[34:35]
	v_fma_f64 v[18:19], -v[18:19], v[36:37], v[38:39]
	v_div_fmas_f64 v[18:19], v[18:19], v[34:35], v[36:37]
	v_add_f64 v[34:35], v[1:2], 0
	v_div_fixup_f64 v[3:4], v[18:19], v[3:4], 1.0
	v_fma_f64 v[18:19], v[1:2], 0, -1.0
	v_mul_f64 v[1:2], v[34:35], v[3:4]
	v_mul_f64 v[3:4], v[18:19], v[3:4]
	s_cbranch_execz .LBB7_207
	s_branch .LBB7_208
.LBB7_206:                              ;   in Loop: Header=BB7_6 Depth=1
                                        ; implicit-def: $vgpr1_vgpr2
                                        ; implicit-def: $vgpr3_vgpr4
.LBB7_207:                              ;   in Loop: Header=BB7_6 Depth=1
	v_div_scale_f64 v[1:2], null, v[5:6], v[5:6], v[7:8]
	v_div_scale_f64 v[34:35], vcc_lo, v[7:8], v[5:6], v[7:8]
	v_rcp_f64_e32 v[3:4], v[1:2]
	v_fma_f64 v[18:19], -v[1:2], v[3:4], 1.0
	v_fma_f64 v[3:4], v[3:4], v[18:19], v[3:4]
	v_fma_f64 v[18:19], -v[1:2], v[3:4], 1.0
	v_fma_f64 v[3:4], v[3:4], v[18:19], v[3:4]
	v_mul_f64 v[18:19], v[34:35], v[3:4]
	v_fma_f64 v[1:2], -v[1:2], v[18:19], v[34:35]
	v_div_fmas_f64 v[1:2], v[1:2], v[3:4], v[18:19]
	v_div_fixup_f64 v[1:2], v[1:2], v[5:6], v[7:8]
	v_fma_f64 v[3:4], v[7:8], v[1:2], v[5:6]
	v_div_scale_f64 v[5:6], null, v[3:4], v[3:4], 1.0
	v_div_scale_f64 v[34:35], vcc_lo, 1.0, v[3:4], 1.0
	v_rcp_f64_e32 v[7:8], v[5:6]
	v_fma_f64 v[18:19], -v[5:6], v[7:8], 1.0
	v_fma_f64 v[7:8], v[7:8], v[18:19], v[7:8]
	v_fma_f64 v[18:19], -v[5:6], v[7:8], 1.0
	v_fma_f64 v[7:8], v[7:8], v[18:19], v[7:8]
	v_mul_f64 v[18:19], v[34:35], v[7:8]
	v_fma_f64 v[5:6], -v[5:6], v[18:19], v[34:35]
	v_div_fmas_f64 v[5:6], v[5:6], v[7:8], v[18:19]
	v_fma_f64 v[7:8], v[1:2], 0, 1.0
	v_div_fixup_f64 v[3:4], v[5:6], v[3:4], 1.0
	v_add_f64 v[5:6], -v[1:2], 0
	v_mul_f64 v[1:2], v[7:8], v[3:4]
	v_mul_f64 v[3:4], v[5:6], v[3:4]
.LBB7_208:                              ;   in Loop: Header=BB7_6 Depth=1
	s_add_i32 s7, s10, -2
	s_mov_b32 s11, exec_lo
	v_cmpx_ge_i32_e64 s7, v0
	s_cbranch_execz .LBB7_211
; %bb.209:                              ;   in Loop: Header=BB7_6 Depth=1
	s_add_i32 s39, s10, -1
	v_add_nc_u32_e32 v5, s5, v0
	v_mad_u64_u32 v[7:8], null, s39, s21, v[0:1]
	v_add_nc_u32_e32 v18, s38, v0
	v_mov_b32_e32 v34, v0
	v_ashrrev_i32_e32 v6, 31, v5
	s_mul_i32 s39, s10, s21
	s_mov_b32 s40, 0
	v_ashrrev_i32_e32 v19, 31, v18
	v_ashrrev_i32_e32 v8, 31, v7
	v_lshlrev_b64 v[5:6], 4, v[5:6]
	v_lshlrev_b64 v[18:19], 4, v[18:19]
	;; [unrolled: 1-line block ×3, first 2 shown]
	v_add_co_u32 v5, vcc_lo, s53, v5
	v_add_co_ci_u32_e64 v6, null, s54, v6, vcc_lo
	v_add_co_u32 v7, vcc_lo, s57, v7
	v_add_co_ci_u32_e64 v8, null, s58, v8, vcc_lo
	v_add_co_u32 v18, vcc_lo, s53, v18
	v_add_co_ci_u32_e64 v19, null, s54, v19, vcc_lo
.LBB7_210:                              ;   Parent Loop BB7_6 Depth=1
                                        ; =>  This Inner Loop Header: Depth=2
	global_load_dwordx4 v[35:38], v[5:6], off offset:-8
	global_load_dwordx4 v[39:42], v[18:19], off offset:-8
	s_waitcnt vmcnt(1)
	v_mul_f64 v[43:44], v[10:11], v[37:38]
	v_mul_f64 v[37:38], v[12:13], v[37:38]
	v_fma_f64 v[43:44], v[12:13], v[35:36], v[43:44]
	v_fma_f64 v[35:36], v[10:11], v[35:36], -v[37:38]
	s_waitcnt vmcnt(0)
	v_add_f64 v[37:38], v[43:44], -v[41:42]
	v_add_f64 v[35:36], v[35:36], -v[39:40]
	v_mul_f64 v[39:40], v[3:4], v[37:38]
	v_mul_f64 v[41:42], v[3:4], v[35:36]
	v_fma_f64 v[35:36], v[1:2], v[35:36], -v[39:40]
	v_fma_f64 v[37:38], v[1:2], v[37:38], v[41:42]
	global_store_dwordx4 v[7:8], v[35:38], off offset:-8
	global_load_dwordx4 v[35:38], v[18:19], off offset:-8
	global_load_dwordx4 v[39:42], v[5:6], off offset:-8
	s_waitcnt vmcnt(1)
	v_mul_f64 v[43:44], v[14:15], v[37:38]
	v_mul_f64 v[37:38], v[16:17], v[37:38]
	v_fma_f64 v[43:44], v[16:17], v[35:36], v[43:44]
	v_fma_f64 v[35:36], v[14:15], v[35:36], -v[37:38]
	s_waitcnt vmcnt(0)
	v_add_f64 v[37:38], v[43:44], -v[41:42]
	v_add_f64 v[35:36], v[35:36], -v[39:40]
	v_add_nc_u32_e32 v43, s39, v34
	v_add_nc_u32_e32 v34, 0x100, v34
	v_ashrrev_i32_e32 v44, 31, v43
	v_cmp_lt_i32_e32 vcc_lo, s7, v34
	s_or_b32 s40, vcc_lo, s40
	v_mul_f64 v[39:40], v[3:4], v[37:38]
	v_mul_f64 v[41:42], v[3:4], v[35:36]
	v_fma_f64 v[35:36], v[1:2], v[35:36], -v[39:40]
	v_fma_f64 v[37:38], v[1:2], v[37:38], v[41:42]
	v_lshlrev_b64 v[39:40], 4, v[43:44]
	v_add_co_u32 v39, s5, s20, v39
	v_add_co_ci_u32_e64 v40, null, s33, v40, s5
	v_add_co_u32 v7, s5, 0x1000, v7
	v_add_co_ci_u32_e64 v8, null, 0, v8, s5
	v_add_co_u32 v5, s5, 0x1000, v5
	v_add_co_ci_u32_e64 v6, null, 0, v6, s5
	v_add_co_u32 v18, s5, 0x1000, v18
	v_add_co_ci_u32_e64 v19, null, 0, v19, s5
	global_store_dwordx4 v[39:40], v[35:38], off
	s_andn2_b32 exec_lo, exec_lo, s40
	s_cbranch_execnz .LBB7_210
.LBB7_211:                              ;   in Loop: Header=BB7_6 Depth=1
	s_or_b32 exec_lo, exec_lo, s11
.LBB7_212:                              ;   in Loop: Header=BB7_6 Depth=1
	s_and_saveexec_b32 s5, s0
	s_cbranch_execz .LBB7_214
; %bb.213:                              ;   in Loop: Header=BB7_6 Depth=1
	s_add_i32 s7, s61, -1
	s_add_i32 s11, s10, -1
	s_mul_i32 s7, s7, s22
	s_ashr_i32 s61, s10, 31
	s_ashr_i32 s39, s7, 31
	s_add_u32 s40, s7, s10
	s_addc_u32 s41, s39, s61
	s_lshl_b64 s[40:41], s[40:41], 4
	s_add_u32 s40, s46, s40
	s_addc_u32 s41, s47, s41
	global_load_dwordx4 v[1:4], v9, s[40:41] offset:-16
	s_mul_i32 s40, s11, s49
	s_ashr_i32 s41, s40, 31
	s_lshl_b64 s[40:41], s[40:41], 4
	s_add_u32 s40, s20, s40
	s_addc_u32 s41, s33, s41
	s_ashr_i32 s7, s38, 31
	s_add_u32 s62, s38, s10
	s_addc_u32 s63, s7, s61
	s_mul_i32 s7, s10, s21
	s_lshl_b64 s[62:63], s[62:63], 4
	s_add_u32 s62, s46, s62
	s_addc_u32 s63, s47, s63
	s_ashr_i32 s11, s7, 31
	s_waitcnt vmcnt(0)
	global_store_dwordx4 v9, v[1:4], s[40:41]
	global_load_dwordx4 v[1:4], v9, s[62:63] offset:-16
	s_add_u32 s40, s10, s7
	s_addc_u32 s41, s61, s11
	s_lshl_b64 s[40:41], s[40:41], 4
	s_add_u32 s40, s20, s40
	s_addc_u32 s41, s33, s41
	s_add_i32 s62, s38, s10
	s_ashr_i32 s63, s62, 31
	s_lshl_b64 s[62:63], s[62:63], 4
	s_add_u32 s62, s46, s62
	s_addc_u32 s63, s47, s63
	s_waitcnt vmcnt(0)
	global_store_dwordx4 v9, v[1:4], s[40:41] offset:-16
	global_load_dwordx4 v[1:4], v9, s[62:63]
	s_add_i32 s40, s7, s10
	s_ashr_i32 s41, s40, 31
	s_lshl_b64 s[40:41], s[40:41], 4
	s_add_u32 s40, s20, s40
	s_addc_u32 s41, s33, s41
	s_waitcnt vmcnt(0)
	global_store_dwordx4 v9, v[1:4], s[40:41]
.LBB7_214:                              ;   in Loop: Header=BB7_6 Depth=1
	s_or_b32 exec_lo, exec_lo, s5
	s_mov_b32 s11, 0
	s_waitcnt_vscnt null, 0x0
	s_barrier
	buffer_gl0_inv
.LBB7_215:                              ;   in Loop: Header=BB7_6 Depth=1
	s_mov_b32 s5, 0
	s_mov_b32 s7, -2
	s_and_b32 vcc_lo, exec_lo, s11
	s_mov_b32 s39, 0
	s_cbranch_vccz .LBB7_226
; %bb.216:                              ;   in Loop: Header=BB7_6 Depth=1
	s_add_i32 s40, s38, s10
	s_ashr_i32 s41, s40, 31
	s_lshl_b64 s[40:41], s[40:41], 4
	s_add_u32 s40, s46, s40
	s_addc_u32 s41, s47, s41
	global_load_dwordx4 v[1:4], v9, s[40:41]
	s_waitcnt vmcnt(0)
	v_cmp_ngt_f64_e64 s7, |v[1:2]|, |v[3:4]|
	s_and_b32 vcc_lo, exec_lo, s7
	s_cbranch_vccz .LBB7_218
; %bb.217:                              ;   in Loop: Header=BB7_6 Depth=1
	v_div_scale_f64 v[5:6], null, v[3:4], v[3:4], v[1:2]
	v_div_scale_f64 v[12:13], vcc_lo, v[1:2], v[3:4], v[1:2]
	v_rcp_f64_e32 v[7:8], v[5:6]
	v_fma_f64 v[10:11], -v[5:6], v[7:8], 1.0
	v_fma_f64 v[7:8], v[7:8], v[10:11], v[7:8]
	v_fma_f64 v[10:11], -v[5:6], v[7:8], 1.0
	v_fma_f64 v[7:8], v[7:8], v[10:11], v[7:8]
	v_mul_f64 v[10:11], v[12:13], v[7:8]
	v_fma_f64 v[5:6], -v[5:6], v[10:11], v[12:13]
	v_div_fmas_f64 v[5:6], v[5:6], v[7:8], v[10:11]
	v_div_fixup_f64 v[5:6], v[5:6], v[3:4], v[1:2]
	v_fma_f64 v[7:8], v[1:2], v[5:6], v[3:4]
	v_div_scale_f64 v[10:11], null, v[7:8], v[7:8], 1.0
	v_div_scale_f64 v[16:17], vcc_lo, 1.0, v[7:8], 1.0
	v_rcp_f64_e32 v[12:13], v[10:11]
	v_fma_f64 v[14:15], -v[10:11], v[12:13], 1.0
	v_fma_f64 v[12:13], v[12:13], v[14:15], v[12:13]
	v_fma_f64 v[14:15], -v[10:11], v[12:13], 1.0
	v_fma_f64 v[12:13], v[12:13], v[14:15], v[12:13]
	v_mul_f64 v[14:15], v[16:17], v[12:13]
	v_fma_f64 v[10:11], -v[10:11], v[14:15], v[16:17]
	v_div_fmas_f64 v[10:11], v[10:11], v[12:13], v[14:15]
	v_add_f64 v[12:13], v[5:6], 0
	v_div_fixup_f64 v[7:8], v[10:11], v[7:8], 1.0
	v_fma_f64 v[10:11], v[5:6], 0, -1.0
	v_mul_f64 v[5:6], v[12:13], v[7:8]
	v_mul_f64 v[7:8], v[10:11], v[7:8]
	s_cbranch_execz .LBB7_219
	s_branch .LBB7_220
.LBB7_218:                              ;   in Loop: Header=BB7_6 Depth=1
                                        ; implicit-def: $vgpr5_vgpr6
                                        ; implicit-def: $vgpr7_vgpr8
.LBB7_219:                              ;   in Loop: Header=BB7_6 Depth=1
	v_div_scale_f64 v[5:6], null, v[1:2], v[1:2], v[3:4]
	v_div_scale_f64 v[12:13], vcc_lo, v[3:4], v[1:2], v[3:4]
	v_rcp_f64_e32 v[7:8], v[5:6]
	v_fma_f64 v[10:11], -v[5:6], v[7:8], 1.0
	v_fma_f64 v[7:8], v[7:8], v[10:11], v[7:8]
	v_fma_f64 v[10:11], -v[5:6], v[7:8], 1.0
	v_fma_f64 v[7:8], v[7:8], v[10:11], v[7:8]
	v_mul_f64 v[10:11], v[12:13], v[7:8]
	v_fma_f64 v[5:6], -v[5:6], v[10:11], v[12:13]
	v_div_fmas_f64 v[5:6], v[5:6], v[7:8], v[10:11]
	v_div_fixup_f64 v[5:6], v[5:6], v[1:2], v[3:4]
	v_fma_f64 v[1:2], v[3:4], v[5:6], v[1:2]
	v_div_scale_f64 v[3:4], null, v[1:2], v[1:2], 1.0
	v_div_scale_f64 v[12:13], vcc_lo, 1.0, v[1:2], 1.0
	v_rcp_f64_e32 v[7:8], v[3:4]
	v_fma_f64 v[10:11], -v[3:4], v[7:8], 1.0
	v_fma_f64 v[7:8], v[7:8], v[10:11], v[7:8]
	v_fma_f64 v[10:11], -v[3:4], v[7:8], 1.0
	v_fma_f64 v[7:8], v[7:8], v[10:11], v[7:8]
	v_mul_f64 v[10:11], v[12:13], v[7:8]
	v_fma_f64 v[3:4], -v[3:4], v[10:11], v[12:13]
	v_div_fmas_f64 v[3:4], v[3:4], v[7:8], v[10:11]
	v_fma_f64 v[7:8], v[5:6], 0, 1.0
	v_div_fixup_f64 v[1:2], v[3:4], v[1:2], 1.0
	v_add_f64 v[3:4], -v[5:6], 0
	v_mul_f64 v[5:6], v[7:8], v[1:2]
	v_mul_f64 v[7:8], v[3:4], v[1:2]
.LBB7_220:                              ;   in Loop: Header=BB7_6 Depth=1
	s_and_saveexec_b32 s7, s0
	s_cbranch_execnz .LBB7_222
; %bb.221:                              ;   in Loop: Header=BB7_6 Depth=1
	s_or_b32 exec_lo, exec_lo, s7
	s_and_saveexec_b32 s7, s4
	s_cbranch_execnz .LBB7_223
	s_branch .LBB7_225
.LBB7_222:                              ;   in Loop: Header=BB7_6 Depth=1
	global_load_dwordx4 v[1:4], v9, s[40:41]
	s_mul_i32 s40, s10, s49
	s_ashr_i32 s41, s40, 31
	s_lshl_b64 s[40:41], s[40:41], 4
	s_add_u32 s40, s20, s40
	s_addc_u32 s41, s33, s41
	s_waitcnt vmcnt(0)
	global_store_dwordx4 v9, v[1:4], s[40:41]
	s_or_b32 exec_lo, exec_lo, s7
	s_and_saveexec_b32 s7, s4
	s_cbranch_execz .LBB7_225
.LBB7_223:                              ;   in Loop: Header=BB7_6 Depth=1
	v_add_nc_u32_e32 v1, s38, v0
	v_mov_b32_e32 v10, v0
	s_mov_b32 s11, 0
	v_mad_u64_u32 v[3:4], null, s10, s21, v[0:1]
	v_ashrrev_i32_e32 v2, 31, v1
	v_lshlrev_b64 v[1:2], 4, v[1:2]
	v_ashrrev_i32_e32 v4, 31, v3
	v_add_co_u32 v1, vcc_lo, s53, v1
	v_lshlrev_b64 v[3:4], 4, v[3:4]
	v_add_co_ci_u32_e64 v2, null, s54, v2, vcc_lo
	v_add_co_u32 v3, vcc_lo, s57, v3
	v_add_co_ci_u32_e64 v4, null, s58, v4, vcc_lo
	.p2align	6
.LBB7_224:                              ;   Parent Loop BB7_6 Depth=1
                                        ; =>  This Inner Loop Header: Depth=2
	global_load_dwordx4 v[11:14], v[1:2], off offset:-8
	v_add_nc_u32_e32 v10, 0x100, v10
	v_add_co_u32 v1, vcc_lo, 0x1000, v1
	v_add_co_ci_u32_e64 v2, null, 0, v2, vcc_lo
	v_cmp_le_i32_e32 vcc_lo, s10, v10
	s_or_b32 s11, vcc_lo, s11
	s_waitcnt vmcnt(0)
	v_mul_f64 v[15:16], v[7:8], v[13:14]
	v_mul_f64 v[17:18], v[5:6], v[13:14]
	v_fma_f64 v[13:14], v[5:6], v[11:12], -v[15:16]
	v_fma_f64 v[15:16], v[7:8], v[11:12], v[17:18]
	global_store_dwordx4 v[3:4], v[13:16], off offset:-8
	v_add_co_u32 v3, s4, 0x1000, v3
	v_add_co_ci_u32_e64 v4, null, 0, v4, s4
	s_andn2_b32 exec_lo, exec_lo, s11
	s_cbranch_execnz .LBB7_224
.LBB7_225:                              ;   in Loop: Header=BB7_6 Depth=1
	s_or_b32 exec_lo, exec_lo, s7
	s_waitcnt_vscnt null, 0x0
	s_barrier
	s_mov_b32 s39, -1
	s_mov_b32 s7, -1
	buffer_gl0_inv
.LBB7_226:                              ;   in Loop: Header=BB7_6 Depth=1
	s_and_b32 vcc_lo, exec_lo, s5
	s_cbranch_vccz .LBB7_230
; %bb.227:                              ;   in Loop: Header=BB7_6 Depth=1
	ds_read_b32 v1, v9 offset:3100
	s_waitcnt lgkmcnt(0)
	v_readfirstlane_b32 s4, v1
	s_cmp_eq_u32 s4, 0
	s_cselect_b32 s4, -1, 0
	s_and_b32 s5, s0, s4
	s_and_saveexec_b32 s4, s5
; %bb.228:                              ;   in Loop: Header=BB7_6 Depth=1
	s_add_i32 s5, s10, 1
	v_mov_b32_e32 v1, s5
	ds_write_b32 v9, v1 offset:3100
; %bb.229:                              ;   in Loop: Header=BB7_6 Depth=1
	s_or_b32 exec_lo, exec_lo, s4
	s_mov_b32 s7, -1
	s_mov_b32 s39, -1
	s_mov_b32 s6, s10
.LBB7_230:                              ;   in Loop: Header=BB7_6 Depth=1
	s_and_saveexec_b32 s38, s0
	s_cbranch_execz .LBB7_4
; %bb.231:                              ;   in Loop: Header=BB7_6 Depth=1
	s_mov_b32 s11, s59
	s_lshl_b64 s[4:5], s[10:11], 2
	s_xor_b32 s11, s39, -1
	s_add_u32 s4, s42, s4
	s_addc_u32 s5, s43, s5
	s_and_b32 vcc_lo, exec_lo, s11
	s_mov_b32 s11, -1
	s_cbranch_vccz .LBB7_233
; %bb.232:                              ;   in Loop: Header=BB7_6 Depth=1
	s_not_b32 s11, s6
	v_mov_b32_e32 v1, s11
	v_mov_b32_e32 v2, s11
	s_mov_b32 s11, 0
	global_store_dwordx2 v9, v[1:2], s[4:5] offset:-4
.LBB7_233:                              ;   in Loop: Header=BB7_6 Depth=1
	s_andn2_b32 vcc_lo, exec_lo, s11
	s_cbranch_vccnz .LBB7_4
; %bb.234:                              ;   in Loop: Header=BB7_6 Depth=1
	s_add_i32 s6, s6, 1
	v_mov_b32_e32 v1, s6
	global_store_dword v9, v1, s[4:5]
	s_branch .LBB7_4
.LBB7_235:
	s_add_i32 s1, s61, 1
.LBB7_236:
	s_and_saveexec_b32 s2, s0
	s_cbranch_execz .LBB7_238
; %bb.237:
	v_mov_b32_e32 v1, 0
	s_lshl_b64 s[4:5], s[26:27], 2
	s_add_u32 s6, s16, s4
	s_addc_u32 s7, s17, s5
	ds_read_b32 v2, v1 offset:3100
	s_add_u32 s4, s14, s4
	s_addc_u32 s5, s15, s5
	s_not_b32 s0, s10
	s_add_i32 s0, s22, s0
	v_mov_b32_e32 v3, s0
	global_store_dword v1, v3, s[6:7]
	s_waitcnt lgkmcnt(0)
	global_store_dword v1, v2, s[4:5]
.LBB7_238:
	s_or_b32 exec_lo, exec_lo, s2
	s_abs_i32 s0, s23
	s_abs_i32 s4, s10
	v_cvt_f32_u32_e32 v1, s0
	s_sub_i32 s3, 0, s0
	s_mov_b32 s5, 0
	v_rcp_iflag_f32_e32 v1, v1
	v_mul_f32_e32 v1, 0x4f7ffffe, v1
	v_cvt_u32_f32_e32 v1, v1
	v_readfirstlane_b32 s2, v1
	s_mul_i32 s3, s3, s2
	s_mul_hi_u32 s3, s2, s3
	s_add_i32 s2, s2, s3
	s_ashr_i32 s3, s10, 31
	s_mul_hi_u32 s2, s4, s2
	s_mul_i32 s2, s2, s0
	s_sub_i32 s2, s4, s2
	s_sub_i32 s4, s2, s0
	s_cmp_ge_u32 s2, s0
	s_cselect_b32 s2, s4, s2
	s_sub_i32 s4, s2, s0
	s_cmp_ge_u32 s2, s0
	s_cselect_b32 s0, s4, s2
	s_add_i32 s2, s10, 1
	s_xor_b32 s0, s0, s3
	s_sub_i32 s0, s3, s0
	s_add_i32 s4, s10, s0
	s_cmp_lt_i32 s4, 0
	s_cbranch_scc1 .LBB7_257
; %bb.239:
	s_not_b32 s3, s10
	s_mul_i32 s0, s2, s21
	s_mul_i32 s6, s1, s22
	s_add_i32 s3, s22, s3
	s_ashr_i32 s1, s0, 31
	s_ashr_i32 s7, s6, 31
	s_cmp_gt_i32 s3, 0
	v_mov_b32_e32 v2, 0
	s_cselect_b32 s14, -1, 0
	s_lshl_b64 s[0:1], s[0:1], 4
	s_add_u32 s15, s20, s0
	s_addc_u32 s16, s33, s1
	s_add_u32 s10, s28, s12
	s_addc_u32 s11, s29, s13
	;; [unrolled: 2-line block ×4, first 2 shown]
	v_add_co_u32 v1, s0, s0, v22
	v_add_co_ci_u32_e64 v3, null, s1, 0, s0
	s_ashr_i32 s1, s21, 31
	s_mov_b32 s0, s21
	s_lshl_b64 s[8:9], s[8:9], 4
	s_lshl_b64 s[10:11], s[6:7], 4
	;; [unrolled: 1-line block ×3, first 2 shown]
	s_add_u32 s0, s8, s10
	s_addc_u32 s1, s9, s11
	v_add_co_u32 v13, vcc_lo, v1, 8
	s_add_u32 s0, s24, s0
	s_addc_u32 s1, s25, s1
	v_add_co_ci_u32_e64 v14, null, 0, v3, vcc_lo
	s_add_u32 s17, s0, 8
	s_addc_u32 s18, s1, 0
	s_ashr_i32 s1, s22, 31
	s_mov_b32 s0, s22
	s_lshl_b64 s[8:9], s[0:1], 4
	s_branch .LBB7_241
.LBB7_240:                              ;   in Loop: Header=BB7_241 Depth=1
	s_or_b32 exec_lo, exec_lo, s1
	s_sub_i32 s4, s4, s23
	s_cmp_gt_i32 s4, -1
	s_cbranch_scc0 .LBB7_257
.LBB7_241:                              ; =>This Loop Header: Depth=1
                                        ;     Child Loop BB7_244 Depth 2
                                        ;       Child Loop BB7_247 Depth 3
                                        ;         Child Loop BB7_249 Depth 4
                                        ;     Child Loop BB7_254 Depth 2
                                        ;       Child Loop BB7_256 Depth 3
	s_lshl_b64 s[0:1], s[4:5], 4
	s_add_u32 s10, s17, s0
	s_addc_u32 s11, s18, s1
	s_sub_i32 s12, s2, s4
	s_min_i32 s19, s12, s23
	s_cmp_lt_i32 s19, 1
	s_cbranch_scc1 .LBB7_250
; %bb.242:                              ;   in Loop: Header=BB7_241 Depth=1
	v_add_co_u32 v3, vcc_lo, v13, s0
	v_add_co_ci_u32_e64 v4, null, s1, v14, vcc_lo
	s_add_i32 s24, s19, s4
	s_add_u32 s25, s20, s0
	s_addc_u32 s26, s33, s1
	s_mov_b64 s[12:13], s[10:11]
	s_mov_b32 s27, s4
	s_branch .LBB7_244
.LBB7_243:                              ;   in Loop: Header=BB7_244 Depth=2
	s_or_b32 exec_lo, exec_lo, s29
	s_add_i32 s27, s27, 1
	s_add_u32 s12, s12, 16
	s_addc_u32 s13, s13, 0
	s_cmp_lt_i32 s27, s24
	s_cbranch_scc0 .LBB7_250
.LBB7_244:                              ;   Parent Loop BB7_241 Depth=1
                                        ; =>  This Loop Header: Depth=2
                                        ;       Child Loop BB7_247 Depth 3
                                        ;         Child Loop BB7_249 Depth 4
	s_sub_i32 s28, s27, s4
	s_mov_b32 s29, exec_lo
	v_cmpx_ge_i32_e64 s28, v0
	s_cbranch_execz .LBB7_243
; %bb.245:                              ;   in Loop: Header=BB7_244 Depth=2
	s_mul_i32 s0, s27, s21
	v_mov_b32_e32 v6, v4
	s_ashr_i32 s1, s0, 31
	v_mov_b32_e32 v5, v3
	s_lshl_b64 s[0:1], s[0:1], 4
	v_mov_b32_e32 v1, v0
	s_add_u32 s30, s25, s0
	s_addc_u32 s31, s26, s1
	s_mov_b32 s34, 0
	s_branch .LBB7_247
.LBB7_246:                              ;   in Loop: Header=BB7_247 Depth=3
	v_lshlrev_b64 v[11:12], 4, v[1:2]
	v_fma_f64 v[22:23], 0x80000000, v[7:8], -v[9:10]
	v_fma_f64 v[9:10], v[9:10], 0, -v[7:8]
	v_add_nc_u32_e32 v1, 0x100, v1
	v_add_co_u32 v5, s0, 0x1000, v5
	v_add_co_u32 v11, vcc_lo, s30, v11
	v_add_co_ci_u32_e64 v12, null, s31, v12, vcc_lo
	v_cmp_lt_i32_e32 vcc_lo, s28, v1
	v_add_co_ci_u32_e64 v6, null, 0, v6, s0
	global_load_dwordx4 v[15:18], v[11:12], off
	s_or_b32 s34, vcc_lo, s34
	s_waitcnt vmcnt(0)
	v_fma_f64 v[7:8], 0x80000000, v[17:18], v[15:16]
	v_fma_f64 v[15:16], v[15:16], 0, v[17:18]
	v_add_f64 v[7:8], v[22:23], v[7:8]
	v_add_f64 v[9:10], v[9:10], v[15:16]
	global_store_dwordx4 v[11:12], v[7:10], off
	s_andn2_b32 exec_lo, exec_lo, s34
	s_cbranch_execz .LBB7_243
.LBB7_247:                              ;   Parent Loop BB7_241 Depth=1
                                        ;     Parent Loop BB7_244 Depth=2
                                        ; =>    This Loop Header: Depth=3
                                        ;         Child Loop BB7_249 Depth 4
	v_mov_b32_e32 v7, 0
	v_mov_b32_e32 v9, 0
	;; [unrolled: 1-line block ×4, first 2 shown]
	s_andn2_b32 vcc_lo, exec_lo, s14
	s_cbranch_vccnz .LBB7_246
; %bb.248:                              ;   in Loop: Header=BB7_247 Depth=3
	v_mov_b32_e32 v12, v6
	v_mov_b32_e32 v11, v5
	s_mov_b64 s[0:1], s[12:13]
	s_mov_b32 s35, s3
	.p2align	6
.LBB7_249:                              ;   Parent Loop BB7_241 Depth=1
                                        ;     Parent Loop BB7_244 Depth=2
                                        ;       Parent Loop BB7_247 Depth=3
                                        ; =>      This Inner Loop Header: Depth=4
	global_load_dwordx4 v[15:18], v2, s[0:1] offset:-8
	global_load_dwordx4 v[22:25], v[11:12], off offset:-8
	v_add_co_u32 v11, vcc_lo, v11, s6
	s_add_i32 s35, s35, -1
	v_add_co_ci_u32_e64 v12, null, s7, v12, vcc_lo
	s_add_u32 s0, s0, s8
	s_addc_u32 s1, s1, s9
	s_cmp_eq_u32 s35, 0
	s_waitcnt vmcnt(0)
	v_mul_f64 v[26:27], v[17:18], v[24:25]
	v_mul_f64 v[24:25], v[15:16], v[24:25]
	v_fma_f64 v[15:16], v[15:16], v[22:23], -v[26:27]
	v_fma_f64 v[17:18], v[17:18], v[22:23], v[24:25]
	v_add_f64 v[9:10], v[9:10], v[15:16]
	v_add_f64 v[7:8], v[7:8], v[17:18]
	s_cbranch_scc0 .LBB7_249
	s_branch .LBB7_246
.LBB7_250:                              ;   in Loop: Header=BB7_241 Depth=1
	s_mul_i32 s0, s19, s4
	s_mov_b32 s1, exec_lo
	v_cmpx_gt_i32_e64 s0, v0
	s_cbranch_execz .LBB7_240
; %bb.251:                              ;   in Loop: Header=BB7_241 Depth=1
	v_cvt_f32_u32_e32 v1, s4
	s_mul_i32 s12, s4, s21
	v_mov_b32_e32 v15, v0
	s_ashr_i32 s13, s12, 31
	s_lshl_b64 s[12:13], s[12:13], 4
	v_rcp_iflag_f32_e32 v1, v1
	s_add_u32 s12, s20, s12
	s_addc_u32 s13, s33, s13
	s_sub_i32 s19, 0, s4
	v_mul_f32_e32 v1, 0x4f7ffffe, v1
	v_cvt_u32_f32_e32 v1, v1
	v_mul_lo_u32 v3, s19, v1
	s_mov_b32 s19, 0
	v_mul_hi_u32 v3, v1, v3
	v_add_nc_u32_e32 v12, v1, v3
	s_branch .LBB7_254
.LBB7_252:                              ;   in Loop: Header=BB7_254 Depth=2
	v_mov_b32_e32 v4, 0
	v_mov_b32_e32 v6, 0
	;; [unrolled: 1-line block ×4, first 2 shown]
.LBB7_253:                              ;   in Loop: Header=BB7_254 Depth=2
	v_mad_u64_u32 v[8:9], null, v3, s21, v[1:2]
	v_fma_f64 v[18:19], 0x80000000, v[4:5], -v[6:7]
	v_fma_f64 v[5:6], v[6:7], 0, -v[4:5]
	v_add_nc_u32_e32 v15, 0x100, v15
	v_ashrrev_i32_e32 v9, 31, v8
	v_lshlrev_b64 v[8:9], 4, v[8:9]
	v_add_co_u32 v16, vcc_lo, s12, v8
	v_add_co_ci_u32_e64 v17, null, s13, v9, vcc_lo
	v_cmp_le_i32_e32 vcc_lo, s0, v15
	global_load_dwordx4 v[8:11], v[16:17], off
	s_or_b32 s19, vcc_lo, s19
	s_waitcnt vmcnt(0)
	v_fma_f64 v[3:4], 0x80000000, v[10:11], v[8:9]
	v_fma_f64 v[7:8], v[8:9], 0, v[10:11]
	v_add_f64 v[3:4], v[18:19], v[3:4]
	v_add_f64 v[5:6], v[5:6], v[7:8]
	global_store_dwordx4 v[16:17], v[3:6], off
	s_andn2_b32 exec_lo, exec_lo, s19
	s_cbranch_execz .LBB7_240
.LBB7_254:                              ;   Parent Loop BB7_241 Depth=1
                                        ; =>  This Loop Header: Depth=2
                                        ;       Child Loop BB7_256 Depth 3
	v_mul_hi_u32 v1, v15, v12
	v_mul_lo_u32 v3, v1, s4
	v_add_nc_u32_e32 v4, 1, v1
	v_sub_nc_u32_e32 v3, v15, v3
	v_subrev_nc_u32_e32 v5, s4, v3
	v_cmp_le_u32_e32 vcc_lo, s4, v3
	v_cndmask_b32_e32 v1, v1, v4, vcc_lo
	v_cndmask_b32_e32 v3, v3, v5, vcc_lo
	v_add_nc_u32_e32 v4, 1, v1
	v_cmp_le_u32_e32 vcc_lo, s4, v3
	v_cndmask_b32_e32 v3, v1, v4, vcc_lo
	s_andn2_b32 vcc_lo, exec_lo, s14
	v_mul_lo_u32 v1, v3, s4
	v_sub_nc_u32_e32 v1, v15, v1
	s_cbranch_vccnz .LBB7_252
; %bb.255:                              ;   in Loop: Header=BB7_254 Depth=2
	v_ashrrev_i32_e32 v4, 31, v3
	v_mov_b32_e32 v6, 0
	v_mov_b32_e32 v7, 0
	;; [unrolled: 1-line block ×3, first 2 shown]
	s_mov_b32 s24, s3
	v_lshlrev_b64 v[8:9], 4, v[3:4]
	v_mov_b32_e32 v4, 0
	v_mov_b32_e32 v5, 0
	v_add_co_u32 v8, vcc_lo, s10, v8
	v_add_co_ci_u32_e64 v9, null, s11, v9, vcc_lo
	.p2align	6
.LBB7_256:                              ;   Parent Loop BB7_241 Depth=1
                                        ;     Parent Loop BB7_254 Depth=2
                                        ; =>    This Inner Loop Header: Depth=3
	v_ashrrev_i32_e32 v11, 31, v10
	s_add_i32 s24, s24, -1
	s_cmp_eq_u32 s24, 0
	v_lshlrev_b64 v[16:17], 4, v[10:11]
	v_add_nc_u32_e32 v10, s21, v10
	v_add_co_u32 v22, vcc_lo, s15, v16
	v_add_co_ci_u32_e64 v23, null, s16, v17, vcc_lo
	global_load_dwordx4 v[16:19], v[8:9], off offset:-8
	global_load_dwordx4 v[22:25], v[22:23], off
	v_add_co_u32 v8, vcc_lo, v8, s8
	v_add_co_ci_u32_e64 v9, null, s9, v9, vcc_lo
	s_waitcnt vmcnt(0)
	v_mul_f64 v[26:27], v[18:19], v[24:25]
	v_mul_f64 v[24:25], v[16:17], v[24:25]
	v_fma_f64 v[16:17], v[16:17], v[22:23], -v[26:27]
	v_fma_f64 v[18:19], v[18:19], v[22:23], v[24:25]
	v_add_f64 v[6:7], v[6:7], v[16:17]
	v_add_f64 v[4:5], v[4:5], v[18:19]
	s_cbranch_scc0 .LBB7_256
	s_branch .LBB7_253
.LBB7_257:
	s_cmp_ge_i32 s2, s44
	s_waitcnt lgkmcnt(0)
	s_waitcnt_vscnt null, 0x0
	s_barrier
	buffer_gl0_inv
	s_cbranch_scc1 .LBB7_265
; %bb.258:
	v_lshl_add_u32 v1, v21, 4, 0x2c20
	v_mov_b32_e32 v2, 0
	s_lshl_b32 s0, s21, 8
	s_branch .LBB7_261
.LBB7_259:                              ;   in Loop: Header=BB7_261 Depth=1
	s_inst_prefetch 0x2
	s_or_b32 exec_lo, exec_lo, s5
	s_waitcnt lgkmcnt(0)
	s_waitcnt_vscnt null, 0x0
	s_barrier
	buffer_gl0_inv
.LBB7_260:                              ;   in Loop: Header=BB7_261 Depth=1
	s_cmp_lt_i32 s1, s44
	s_mov_b32 s2, s1
	s_cbranch_scc0 .LBB7_265
.LBB7_261:                              ; =>This Loop Header: Depth=1
                                        ;     Child Loop BB7_264 Depth 2
	s_ashr_i32 s3, s2, 31
	s_lshl_b64 s[4:5], s[2:3], 2
	s_add_u32 s4, s42, s4
	s_addc_u32 s5, s43, s5
	global_load_dword v3, v2, s[4:5]
	s_waitcnt vmcnt(0)
	v_readfirstlane_b32 s1, v3
	s_not_b32 s3, s1
	s_add_i32 s4, s1, -1
	s_cmp_lt_i32 s1, 0
	s_cselect_b32 s3, s3, s4
	s_lshr_b32 s6, s1, 31
	s_add_i32 s1, s2, s6
	s_add_i32 s1, s1, 1
	s_cmp_eq_u32 s3, s2
	s_cselect_b32 s4, -1, 0
	s_cmp_le_i32 s22, s1
	s_cselect_b32 s5, -1, 0
	s_or_b32 s4, s4, s5
	s_and_b32 vcc_lo, exec_lo, s4
	s_cbranch_vccnz .LBB7_260
; %bb.262:                              ;   in Loop: Header=BB7_261 Depth=1
	s_sub_i32 s4, s22, s1
	s_mov_b32 s5, exec_lo
	v_cmpx_gt_i32_e64 s4, v0
	s_cbranch_execz .LBB7_259
; %bb.263:                              ;   in Loop: Header=BB7_261 Depth=1
	v_add3_u32 v3, s6, s2, v20
	v_mov_b32_e32 v4, v0
	s_mov_b32 s6, 0
	v_mul_lo_u32 v3, s21, v3
	s_inst_prefetch 0x1
	.p2align	6
.LBB7_264:                              ;   Parent Loop BB7_261 Depth=1
                                        ; =>  This Inner Loop Header: Depth=2
	v_add_nc_u32_e32 v5, s3, v3
	v_add_nc_u32_e32 v7, s2, v3
	;; [unrolled: 1-line block ×4, first 2 shown]
	v_ashrrev_i32_e32 v6, 31, v5
	v_ashrrev_i32_e32 v8, 31, v7
	v_lshlrev_b64 v[5:6], 4, v[5:6]
	v_lshlrev_b64 v[7:8], 4, v[7:8]
	v_add_co_u32 v13, vcc_lo, s20, v5
	v_add_co_ci_u32_e64 v14, null, s33, v6, vcc_lo
	v_add_co_u32 v15, vcc_lo, s20, v7
	v_add_co_ci_u32_e64 v16, null, s33, v8, vcc_lo
	s_clause 0x1
	global_load_dwordx4 v[5:8], v[13:14], off
	global_load_dwordx4 v[9:12], v[15:16], off
	v_cmp_le_i32_e32 vcc_lo, s4, v4
	s_or_b32 s6, vcc_lo, s6
	s_waitcnt vmcnt(1)
	ds_write2_b64 v1, v[5:6], v[7:8] offset1:1
	s_waitcnt vmcnt(0)
	global_store_dwordx4 v[13:14], v[9:12], off
	global_store_dwordx4 v[15:16], v[5:8], off
	s_andn2_b32 exec_lo, exec_lo, s6
	s_cbranch_execnz .LBB7_264
	s_branch .LBB7_259
.LBB7_265:
	s_endpgm
	.section	.rodata,"a",@progbits
	.p2align	6, 0x0
	.amdhsa_kernel _ZN9rocsolver6v33100L18lasyf_kernel_upperI19rocblas_complex_numIdEPS3_EEviiPiT0_iilS5_lS5_PT_
		.amdhsa_group_segment_fixed_size 15392
		.amdhsa_private_segment_fixed_size 0
		.amdhsa_kernarg_size 72
		.amdhsa_user_sgpr_count 8
		.amdhsa_user_sgpr_private_segment_buffer 1
		.amdhsa_user_sgpr_dispatch_ptr 1
		.amdhsa_user_sgpr_queue_ptr 0
		.amdhsa_user_sgpr_kernarg_segment_ptr 1
		.amdhsa_user_sgpr_dispatch_id 0
		.amdhsa_user_sgpr_flat_scratch_init 0
		.amdhsa_user_sgpr_private_segment_size 0
		.amdhsa_wavefront_size32 1
		.amdhsa_uses_dynamic_stack 0
		.amdhsa_system_sgpr_private_segment_wavefront_offset 0
		.amdhsa_system_sgpr_workgroup_id_x 1
		.amdhsa_system_sgpr_workgroup_id_y 1
		.amdhsa_system_sgpr_workgroup_id_z 0
		.amdhsa_system_sgpr_workgroup_info 0
		.amdhsa_system_vgpr_workitem_id 2
		.amdhsa_next_free_vgpr 45
		.amdhsa_next_free_sgpr 72
		.amdhsa_reserve_vcc 1
		.amdhsa_reserve_flat_scratch 0
		.amdhsa_float_round_mode_32 0
		.amdhsa_float_round_mode_16_64 0
		.amdhsa_float_denorm_mode_32 3
		.amdhsa_float_denorm_mode_16_64 3
		.amdhsa_dx10_clamp 1
		.amdhsa_ieee_mode 1
		.amdhsa_fp16_overflow 0
		.amdhsa_workgroup_processor_mode 1
		.amdhsa_memory_ordered 1
		.amdhsa_forward_progress 1
		.amdhsa_shared_vgpr_count 0
		.amdhsa_exception_fp_ieee_invalid_op 0
		.amdhsa_exception_fp_denorm_src 0
		.amdhsa_exception_fp_ieee_div_zero 0
		.amdhsa_exception_fp_ieee_overflow 0
		.amdhsa_exception_fp_ieee_underflow 0
		.amdhsa_exception_fp_ieee_inexact 0
		.amdhsa_exception_int_div_zero 0
	.end_amdhsa_kernel
	.section	.text._ZN9rocsolver6v33100L18lasyf_kernel_upperI19rocblas_complex_numIdEPS3_EEviiPiT0_iilS5_lS5_PT_,"axG",@progbits,_ZN9rocsolver6v33100L18lasyf_kernel_upperI19rocblas_complex_numIdEPS3_EEviiPiT0_iilS5_lS5_PT_,comdat
.Lfunc_end7:
	.size	_ZN9rocsolver6v33100L18lasyf_kernel_upperI19rocblas_complex_numIdEPS3_EEviiPiT0_iilS5_lS5_PT_, .Lfunc_end7-_ZN9rocsolver6v33100L18lasyf_kernel_upperI19rocblas_complex_numIdEPS3_EEviiPiT0_iilS5_lS5_PT_
                                        ; -- End function
	.set _ZN9rocsolver6v33100L18lasyf_kernel_upperI19rocblas_complex_numIdEPS3_EEviiPiT0_iilS5_lS5_PT_.num_vgpr, 45
	.set _ZN9rocsolver6v33100L18lasyf_kernel_upperI19rocblas_complex_numIdEPS3_EEviiPiT0_iilS5_lS5_PT_.num_agpr, 0
	.set _ZN9rocsolver6v33100L18lasyf_kernel_upperI19rocblas_complex_numIdEPS3_EEviiPiT0_iilS5_lS5_PT_.numbered_sgpr, 72
	.set _ZN9rocsolver6v33100L18lasyf_kernel_upperI19rocblas_complex_numIdEPS3_EEviiPiT0_iilS5_lS5_PT_.num_named_barrier, 0
	.set _ZN9rocsolver6v33100L18lasyf_kernel_upperI19rocblas_complex_numIdEPS3_EEviiPiT0_iilS5_lS5_PT_.private_seg_size, 0
	.set _ZN9rocsolver6v33100L18lasyf_kernel_upperI19rocblas_complex_numIdEPS3_EEviiPiT0_iilS5_lS5_PT_.uses_vcc, 1
	.set _ZN9rocsolver6v33100L18lasyf_kernel_upperI19rocblas_complex_numIdEPS3_EEviiPiT0_iilS5_lS5_PT_.uses_flat_scratch, 0
	.set _ZN9rocsolver6v33100L18lasyf_kernel_upperI19rocblas_complex_numIdEPS3_EEviiPiT0_iilS5_lS5_PT_.has_dyn_sized_stack, 0
	.set _ZN9rocsolver6v33100L18lasyf_kernel_upperI19rocblas_complex_numIdEPS3_EEviiPiT0_iilS5_lS5_PT_.has_recursion, 0
	.set _ZN9rocsolver6v33100L18lasyf_kernel_upperI19rocblas_complex_numIdEPS3_EEviiPiT0_iilS5_lS5_PT_.has_indirect_call, 0
	.section	.AMDGPU.csdata,"",@progbits
; Kernel info:
; codeLenInByte = 13272
; TotalNumSgprs: 74
; NumVgprs: 45
; ScratchSize: 0
; MemoryBound: 0
; FloatMode: 240
; IeeeMode: 1
; LDSByteSize: 15392 bytes/workgroup (compile time only)
; SGPRBlocks: 0
; VGPRBlocks: 5
; NumSGPRsForWavesPerEU: 74
; NumVGPRsForWavesPerEU: 45
; Occupancy: 16
; WaveLimiterHint : 1
; COMPUTE_PGM_RSRC2:SCRATCH_EN: 0
; COMPUTE_PGM_RSRC2:USER_SGPR: 8
; COMPUTE_PGM_RSRC2:TRAP_HANDLER: 0
; COMPUTE_PGM_RSRC2:TGID_X_EN: 1
; COMPUTE_PGM_RSRC2:TGID_Y_EN: 1
; COMPUTE_PGM_RSRC2:TGID_Z_EN: 0
; COMPUTE_PGM_RSRC2:TIDIG_COMP_CNT: 2
	.section	.text._ZN9rocsolver6v33100L18lasyf_kernel_lowerI19rocblas_complex_numIdEPS3_EEviiPiT0_iilS5_lS5_PT_,"axG",@progbits,_ZN9rocsolver6v33100L18lasyf_kernel_lowerI19rocblas_complex_numIdEPS3_EEviiPiT0_iilS5_lS5_PT_,comdat
	.globl	_ZN9rocsolver6v33100L18lasyf_kernel_lowerI19rocblas_complex_numIdEPS3_EEviiPiT0_iilS5_lS5_PT_ ; -- Begin function _ZN9rocsolver6v33100L18lasyf_kernel_lowerI19rocblas_complex_numIdEPS3_EEviiPiT0_iilS5_lS5_PT_
	.p2align	8
	.type	_ZN9rocsolver6v33100L18lasyf_kernel_lowerI19rocblas_complex_numIdEPS3_EEviiPiT0_iilS5_lS5_PT_,@function
_ZN9rocsolver6v33100L18lasyf_kernel_lowerI19rocblas_complex_numIdEPS3_EEviiPiT0_iilS5_lS5_PT_: ; @_ZN9rocsolver6v33100L18lasyf_kernel_lowerI19rocblas_complex_numIdEPS3_EEviiPiT0_iilS5_lS5_PT_
; %bb.0:
	v_cmp_eq_u32_e64 s0, 0, v0
	s_mov_b32 s26, s9
	s_and_saveexec_b32 s1, s0
; %bb.1:
	v_mov_b32_e32 v3, 0
	ds_write_b32 v3, v3 offset:3100
; %bb.2:
	s_or_b32 exec_lo, exec_lo, s1
	s_load_dwordx2 s[2:3], s[4:5], 0x4
	s_clause 0x4
	s_load_dwordx2 s[20:21], s[6:7], 0x18
	s_load_dwordx8 s[8:15], s[6:7], 0x20
	s_load_dwordx2 s[22:23], s[6:7], 0x0
	s_load_dwordx4 s[16:19], s[6:7], 0x8
	s_load_dwordx2 s[24:25], s[6:7], 0x40
	s_ashr_i32 s27, s26, 31
	v_lshlrev_b32_e32 v33, 4, v0
	s_waitcnt lgkmcnt(0)
	s_lshr_b32 s1, s2, 16
	s_ashr_i32 s5, s20, 31
	s_mul_hi_u32 s2, s8, s26
	s_mul_i32 s7, s8, s27
	s_mul_i32 s9, s9, s26
	s_add_i32 s2, s2, s7
	s_mul_i32 s6, s8, s26
	s_add_i32 s7, s2, s9
	s_mov_b32 s4, s20
	s_lshl_b64 s[30:31], s[6:7], 4
	s_mul_i32 s8, s22, s26
	s_add_u32 s7, s18, s30
	s_addc_u32 s9, s19, s31
	s_lshl_b64 s[34:35], s[4:5], 4
	s_mul_i32 s4, s8, s23
	s_add_u32 s20, s7, s34
	s_addc_u32 s33, s9, s35
	s_ashr_i32 s5, s4, 31
	s_mul_i32 s1, s1, s3
	s_lshl_b64 s[28:29], s[4:5], 4
	v_mul_lo_u32 v3, s1, v0
	s_mul_hi_u32 s36, s12, s26
	s_mul_i32 s2, s12, s27
	s_add_u32 s8, s24, s28
	v_mul_u32_u24_e32 v1, s3, v1
	s_mul_i32 s6, s13, s26
	s_addc_u32 s9, s25, s29
	s_add_i32 s1, s36, s2
	s_mul_i32 s2, s12, s26
	s_add_i32 s3, s1, s6
	v_mul_lo_u32 v31, v0, s21
	s_lshl_b64 s[2:3], s[2:3], 2
	v_add3_u32 v32, v3, v1, v2
	s_add_u32 s42, s10, s2
	s_addc_u32 s43, s11, s3
	s_cmp_lt_i32 s22, 1
	s_cbranch_scc1 .LBB8_264
; %bb.3:
	s_add_i32 s44, s23, -1
	s_cmp_eq_u32 s23, s22
	v_lshlrev_b32_e32 v1, 4, v32
	s_cselect_b32 s45, -1, 0
	s_add_i32 s46, s22, -1
	s_add_i32 s47, s21, 1
	s_add_i32 s48, s22, -2
	s_add_i32 s49, s22, 1
	s_add_u32 s50, s24, s28
	s_addc_u32 s51, s25, s29
	s_add_u32 s4, s30, s34
	s_addc_u32 s5, s31, s35
	s_add_u32 s52, s18, s4
	v_add_nc_u32_e32 v34, 0x1c20, v1
	v_add_nc_u32_e32 v35, 0xc20, v1
	s_addc_u32 s53, s19, s5
	v_add_co_u32 v1, s4, s52, v33
	v_add_co_ci_u32_e64 v2, null, s53, 0, s4
	s_ashr_i32 s5, s21, 31
	s_mov_b32 s4, s21
	v_add_co_u32 v38, vcc_lo, v1, 8
	s_lshl_b64 s[12:13], s[4:5], 4
	v_add_co_u32 v1, s4, s50, v33
	v_mul_lo_u32 v42, v0, s22
	v_add_co_ci_u32_e64 v39, null, 0, v2, vcc_lo
	v_add_co_ci_u32_e64 v2, null, s51, 0, s4
	v_add_nc_u32_e32 v11, 2, v0
	v_mov_b32_e32 v13, 0
	s_add_u32 s54, s50, 8
	v_add_co_u32 v40, vcc_lo, v1, 16
	s_addc_u32 s55, s51, 0
	s_lshl_b32 s4, s22, 8
	v_mul_lo_u32 v45, v0, s21
	v_add_co_ci_u32_e64 v41, null, 0, v2, vcc_lo
	v_add_co_u32 v43, vcc_lo, v1, 8
	s_mov_b32 s11, 0
	s_mov_b32 s10, s22
	s_ashr_i32 s5, s4, 31
	v_lshlrev_b32_e32 v36, 3, v0
	v_lshl_or_b32 v37, v0, 2, 0x800
	v_cmp_gt_u32_e64 s1, 0x80, v0
	v_cmp_gt_u32_e64 s2, 64, v0
	;; [unrolled: 1-line block ×3, first 2 shown]
	v_add_co_ci_u32_e64 v44, null, 0, v2, vcc_lo
	v_ashrrev_i32_e32 v46, 31, v42
	v_add_nc_u32_e32 v47, s21, v11
	v_mov_b32_e32 v9, v13
	s_lshl_b64 s[36:37], s[10:11], 4
	s_lshl_b32 s10, s21, 8
	s_lshl_b64 s[38:39], s[4:5], 4
	s_add_u32 s56, s52, 8
	s_mov_b32 s40, 0x66afed07
	s_addc_u32 s57, s53, 0
	s_mov_b32 s41, 0x3fe47e0f
                                        ; implicit-def: $sgpr58
	s_branch .LBB8_6
.LBB8_4:                                ;   in Loop: Header=BB8_6 Depth=1
	s_or_b32 exec_lo, exec_lo, s4
	v_add_nc_u32_e32 v9, v3, v9
	s_andn2_b32 s4, s58, exec_lo
	v_cmp_le_i32_e32 vcc_lo, s22, v9
	s_and_b32 s5, vcc_lo, exec_lo
	s_or_b32 s58, s4, s5
.LBB8_5:                                ;   in Loop: Header=BB8_6 Depth=1
	s_or_b32 exec_lo, exec_lo, s59
	s_and_b32 s4, exec_lo, s58
	s_or_b32 s11, s4, s11
	s_andn2_b32 exec_lo, exec_lo, s11
	s_cbranch_execz .LBB8_232
.LBB8_6:                                ; =>This Loop Header: Depth=1
                                        ;     Child Loop BB8_11 Depth 2
                                        ;     Child Loop BB8_16 Depth 2
                                        ;       Child Loop BB8_18 Depth 3
                                        ;     Child Loop BB8_22 Depth 2
                                        ;     Child Loop BB8_66 Depth 2
	;; [unrolled: 1-line block ×4, first 2 shown]
                                        ;       Child Loop BB8_78 Depth 3
                                        ;     Child Loop BB8_83 Depth 2
                                        ;     Child Loop BB8_126 Depth 2
	;; [unrolled: 1-line block ×9, first 2 shown]
	v_cmp_gt_i32_e32 vcc_lo, s44, v9
	s_or_b32 s58, s58, exec_lo
	s_or_b32 s4, s45, vcc_lo
	s_and_saveexec_b32 s59, s4
	s_cbranch_execz .LBB8_5
; %bb.7:                                ;   in Loop: Header=BB8_6 Depth=1
	v_sub_nc_u32_e32 v29, s22, v9
	v_mul_lo_u32 v5, v9, s22
	s_mov_b32 s4, exec_lo
	v_cmp_lt_i32_e64 s5, v0, v29
	v_cmpx_ge_i32_e64 v0, v29
	s_xor_b32 s4, exec_lo, s4
; %bb.8:                                ;   in Loop: Header=BB8_6 Depth=1
	v_mul_lo_u32 v5, v9, s22
; %bb.9:                                ;   in Loop: Header=BB8_6 Depth=1
	s_andn2_saveexec_b32 s6, s4
	s_cbranch_execz .LBB8_13
; %bb.10:                               ;   in Loop: Header=BB8_6 Depth=1
	v_mad_u64_u32 v[1:2], null, s47, v9, v[0:1]
	s_mov_b32 s7, 0
	v_mad_u64_u32 v[3:4], null, s49, v9, v[0:1]
	v_mov_b32_e32 v4, v13
	v_ashrrev_i32_e32 v2, 31, v1
	v_lshlrev_b64 v[6:7], 4, v[1:2]
	v_lshlrev_b64 v[3:4], 4, v[3:4]
	v_add_co_u32 v1, vcc_lo, s50, v3
	v_add_co_ci_u32_e64 v2, null, s51, v4, vcc_lo
	v_add_co_u32 v3, vcc_lo, s52, v6
	v_add_co_ci_u32_e64 v4, null, s53, v7, vcc_lo
	v_mov_b32_e32 v6, v0
	.p2align	6
.LBB8_11:                               ;   Parent Loop BB8_6 Depth=1
                                        ; =>  This Inner Loop Header: Depth=2
	global_load_dwordx4 v[14:17], v[3:4], off
	v_add_nc_u32_e32 v6, 0x100, v6
	v_add_co_u32 v3, vcc_lo, 0x1000, v3
	v_add_co_ci_u32_e64 v4, null, 0, v4, vcc_lo
	v_cmp_ge_i32_e32 vcc_lo, v6, v29
	s_or_b32 s7, vcc_lo, s7
	s_waitcnt vmcnt(0)
	global_store_dwordx4 v[1:2], v[14:17], off
	v_add_co_u32 v1, s4, 0x1000, v1
	v_add_co_ci_u32_e64 v2, null, 0, v2, s4
	s_andn2_b32 exec_lo, exec_lo, s7
	s_cbranch_execnz .LBB8_11
; %bb.12:                               ;   in Loop: Header=BB8_6 Depth=1
	s_or_b32 exec_lo, exec_lo, s7
.LBB8_13:                               ;   in Loop: Header=BB8_6 Depth=1
	s_or_b32 exec_lo, exec_lo, s6
	v_mov_b32_e32 v10, v13
	v_ashrrev_i32_e32 v6, 31, v5
	s_waitcnt_vscnt null, 0x0
	s_barrier
	buffer_gl0_inv
	v_lshlrev_b64 v[16:17], 4, v[9:10]
	v_lshlrev_b64 v[3:4], 4, v[5:6]
	v_add_co_u32 v27, vcc_lo, s8, v16
	v_add_co_ci_u32_e64 v28, null, s9, v17, vcc_lo
	v_add_co_u32 v14, vcc_lo, v27, v3
	v_add_co_ci_u32_e64 v15, null, v28, v4, vcc_lo
	s_and_saveexec_b32 s7, s5
	s_cbranch_execz .LBB8_20
; %bb.14:                               ;   in Loop: Header=BB8_6 Depth=1
	v_add_co_u32 v1, s4, v38, v16
	v_add_co_ci_u32_e64 v2, null, v39, v17, s4
	v_add_co_u32 v7, s4, s54, v16
	v_add_co_ci_u32_e64 v8, null, s55, v17, s4
	v_mov_b32_e32 v12, v0
	s_mov_b32 s60, 0
	v_cmp_ne_u32_e32 vcc_lo, 0, v9
	s_branch .LBB8_16
.LBB8_15:                               ;   in Loop: Header=BB8_16 Depth=2
	s_or_b32 exec_lo, exec_lo, s61
	v_lshlrev_b64 v[22:23], 4, v[12:13]
	v_fma_f64 v[50:51], 0x80000000, v[18:19], -v[20:21]
	v_fma_f64 v[20:21], v[20:21], 0, -v[18:19]
	v_add_nc_u32_e32 v12, 0x100, v12
	v_add_co_u32 v1, s6, 0x1000, v1
	v_add_co_u32 v48, s4, v14, v22
	v_add_co_ci_u32_e64 v49, null, v15, v23, s4
	v_cmp_ge_i32_e64 s4, v12, v29
	v_add_co_ci_u32_e64 v2, null, 0, v2, s6
	global_load_dwordx4 v[22:25], v[48:49], off
	s_or_b32 s60, s4, s60
	s_waitcnt vmcnt(0)
	v_fma_f64 v[18:19], 0x80000000, v[24:25], v[22:23]
	v_fma_f64 v[22:23], v[22:23], 0, v[24:25]
	v_add_f64 v[18:19], v[50:51], v[18:19]
	v_add_f64 v[20:21], v[20:21], v[22:23]
	global_store_dwordx4 v[48:49], v[18:21], off
	s_andn2_b32 exec_lo, exec_lo, s60
	s_cbranch_execz .LBB8_20
.LBB8_16:                               ;   Parent Loop BB8_6 Depth=1
                                        ; =>  This Loop Header: Depth=2
                                        ;       Child Loop BB8_18 Depth 3
	v_mov_b32_e32 v18, 0
	v_mov_b32_e32 v20, 0
	;; [unrolled: 1-line block ×4, first 2 shown]
	s_and_saveexec_b32 s61, vcc_lo
	s_cbranch_execz .LBB8_15
; %bb.17:                               ;   in Loop: Header=BB8_16 Depth=2
	v_mov_b32_e32 v18, 0
	v_mov_b32_e32 v23, v8
	;; [unrolled: 1-line block ×9, first 2 shown]
	s_mov_b32 s62, 0
	.p2align	6
.LBB8_18:                               ;   Parent Loop BB8_6 Depth=1
                                        ;     Parent Loop BB8_16 Depth=2
                                        ; =>    This Inner Loop Header: Depth=3
	global_load_dwordx4 v[48:51], v[22:23], off offset:-8
	global_load_dwordx4 v[52:55], v[24:25], off offset:-8
	v_add_nc_u32_e32 v26, -1, v26
	v_add_co_u32 v24, s4, v24, s12
	v_add_co_ci_u32_e64 v25, null, s13, v25, s4
	v_cmp_eq_u32_e64 s4, 0, v26
	v_add_co_u32 v22, s6, v22, s36
	v_add_co_ci_u32_e64 v23, null, s37, v23, s6
	s_or_b32 s62, s4, s62
	s_waitcnt vmcnt(0)
	v_mul_f64 v[56:57], v[50:51], v[54:55]
	v_mul_f64 v[54:55], v[48:49], v[54:55]
	v_fma_f64 v[48:49], v[48:49], v[52:53], -v[56:57]
	v_fma_f64 v[50:51], v[50:51], v[52:53], v[54:55]
	v_add_f64 v[20:21], v[20:21], v[48:49]
	v_add_f64 v[18:19], v[18:19], v[50:51]
	s_andn2_b32 exec_lo, exec_lo, s62
	s_cbranch_execnz .LBB8_18
; %bb.19:                               ;   in Loop: Header=BB8_16 Depth=2
	s_or_b32 exec_lo, exec_lo, s62
	s_branch .LBB8_15
.LBB8_20:                               ;   in Loop: Header=BB8_6 Depth=1
	s_or_b32 exec_lo, exec_lo, s7
	v_add_nc_u32_e32 v26, -1, v29
	v_mov_b32_e32 v1, 0
	v_mov_b32_e32 v2, 0
	v_bfrev_b32_e32 v7, -2
	s_waitcnt_vscnt null, 0x0
	v_cmp_lt_i32_e64 s4, v0, v26
	s_barrier
	buffer_gl0_inv
	s_and_saveexec_b32 s60, s4
	s_cbranch_execz .LBB8_24
; %bb.21:                               ;   in Loop: Header=BB8_6 Depth=1
	v_add_co_u32 v1, vcc_lo, v3, v16
	v_add_co_ci_u32_e64 v2, null, v4, v17, vcc_lo
	v_bfrev_b32_e32 v7, -2
	v_add_co_u32 v3, vcc_lo, v40, v1
	v_add_co_ci_u32_e64 v4, null, v41, v2, vcc_lo
	v_mov_b32_e32 v1, 0
	v_mov_b32_e32 v2, 0
	;; [unrolled: 1-line block ×3, first 2 shown]
	s_mov_b32 s61, 0
	s_inst_prefetch 0x1
	.p2align	6
.LBB8_22:                               ;   Parent Loop BB8_6 Depth=1
                                        ; =>  This Inner Loop Header: Depth=2
	global_load_dwordx4 v[18:21], v[3:4], off
	v_add_co_u32 v3, s7, 0x1000, v3
	v_add_co_ci_u32_e64 v4, null, 0, v4, s7
	s_waitcnt vmcnt(0)
	v_cmp_gt_f64_e32 vcc_lo, 0, v[20:21]
	v_cmp_gt_f64_e64 s6, 0, v[18:19]
	v_xor_b32_e32 v12, 0x80000000, v19
	v_xor_b32_e32 v22, 0x80000000, v21
	v_cndmask_b32_e32 v21, v21, v22, vcc_lo
	v_cndmask_b32_e64 v19, v19, v12, s6
	v_cmp_eq_u32_e64 s6, 0x7fffffff, v7
	v_add_nc_u32_e32 v12, 1, v8
	v_add_nc_u32_e32 v8, 0x100, v8
	v_add_f64 v[18:19], v[18:19], v[20:21]
	v_cmp_ge_i32_e64 s7, v8, v26
	v_cmp_lt_f64_e32 vcc_lo, v[1:2], v[18:19]
	s_or_b32 vcc_lo, vcc_lo, s6
	s_or_b32 s61, s7, s61
	v_cndmask_b32_e32 v7, v7, v12, vcc_lo
	v_cndmask_b32_e32 v2, v2, v19, vcc_lo
	;; [unrolled: 1-line block ×3, first 2 shown]
	s_andn2_b32 exec_lo, exec_lo, s61
	s_cbranch_execnz .LBB8_22
; %bb.23:                               ;   in Loop: Header=BB8_6 Depth=1
	s_inst_prefetch 0x2
	s_or_b32 exec_lo, exec_lo, s61
.LBB8_24:                               ;   in Loop: Header=BB8_6 Depth=1
	s_or_b32 exec_lo, exec_lo, s60
	s_mov_b32 s60, exec_lo
	ds_write_b64 v36, v[1:2]
	ds_write_b32 v37, v7
	s_waitcnt lgkmcnt(0)
	s_barrier
	buffer_gl0_inv
	v_cmpx_lt_i32_e32 2, v29
	s_cbranch_execz .LBB8_60
; %bb.25:                               ;   in Loop: Header=BB8_6 Depth=1
	s_and_saveexec_b32 s7, s1
	s_cbranch_execz .LBB8_31
; %bb.26:                               ;   in Loop: Header=BB8_6 Depth=1
	ds_read_b64 v[3:4], v36 offset:1024
	ds_read_b32 v8, v37 offset:512
	s_mov_b32 s62, exec_lo
	s_waitcnt lgkmcnt(1)
	v_cmp_lt_f64_e64 s61, v[1:2], v[3:4]
	v_cmpx_nlt_f64_e32 v[1:2], v[3:4]
	s_cbranch_execz .LBB8_28
; %bb.27:                               ;   in Loop: Header=BB8_6 Depth=1
	v_cmp_eq_f64_e32 vcc_lo, v[1:2], v[3:4]
	s_waitcnt lgkmcnt(0)
	v_cmp_gt_i32_e64 s6, v7, v8
	s_andn2_b32 s61, s61, exec_lo
	s_and_b32 s6, vcc_lo, s6
	s_and_b32 s6, s6, exec_lo
	s_or_b32 s61, s61, s6
.LBB8_28:                               ;   in Loop: Header=BB8_6 Depth=1
	s_or_b32 exec_lo, exec_lo, s62
	s_and_saveexec_b32 s6, s61
	s_cbranch_execz .LBB8_30
; %bb.29:                               ;   in Loop: Header=BB8_6 Depth=1
	v_mov_b32_e32 v1, v3
	v_mov_b32_e32 v2, v4
	s_waitcnt lgkmcnt(0)
	v_mov_b32_e32 v7, v8
	ds_write_b64 v36, v[3:4]
	ds_write_b32 v37, v8
.LBB8_30:                               ;   in Loop: Header=BB8_6 Depth=1
	s_or_b32 exec_lo, exec_lo, s6
.LBB8_31:                               ;   in Loop: Header=BB8_6 Depth=1
	s_or_b32 exec_lo, exec_lo, s7
	s_waitcnt lgkmcnt(0)
	s_barrier
	buffer_gl0_inv
	s_and_saveexec_b32 s7, s2
	s_cbranch_execz .LBB8_37
; %bb.32:                               ;   in Loop: Header=BB8_6 Depth=1
	ds_read_b64 v[3:4], v36 offset:512
	ds_read_b32 v8, v37 offset:256
	s_mov_b32 s62, exec_lo
	s_waitcnt lgkmcnt(1)
	v_cmp_lt_f64_e64 s61, v[1:2], v[3:4]
	v_cmpx_nlt_f64_e32 v[1:2], v[3:4]
	s_cbranch_execz .LBB8_34
; %bb.33:                               ;   in Loop: Header=BB8_6 Depth=1
	v_cmp_eq_f64_e32 vcc_lo, v[1:2], v[3:4]
	s_waitcnt lgkmcnt(0)
	v_cmp_gt_i32_e64 s6, v7, v8
	s_andn2_b32 s61, s61, exec_lo
	s_and_b32 s6, vcc_lo, s6
	s_and_b32 s6, s6, exec_lo
	s_or_b32 s61, s61, s6
.LBB8_34:                               ;   in Loop: Header=BB8_6 Depth=1
	s_or_b32 exec_lo, exec_lo, s62
	s_and_saveexec_b32 s6, s61
	s_cbranch_execz .LBB8_36
; %bb.35:                               ;   in Loop: Header=BB8_6 Depth=1
	v_mov_b32_e32 v1, v3
	v_mov_b32_e32 v2, v4
	s_waitcnt lgkmcnt(0)
	v_mov_b32_e32 v7, v8
	ds_write_b64 v36, v[3:4]
	ds_write_b32 v37, v8
.LBB8_36:                               ;   in Loop: Header=BB8_6 Depth=1
	s_or_b32 exec_lo, exec_lo, s6
.LBB8_37:                               ;   in Loop: Header=BB8_6 Depth=1
	s_or_b32 exec_lo, exec_lo, s7
	s_waitcnt lgkmcnt(0)
	s_barrier
	buffer_gl0_inv
	s_and_b32 exec_lo, exec_lo, s3
	s_cbranch_execz .LBB8_60
; %bb.38:                               ;   in Loop: Header=BB8_6 Depth=1
	ds_read_b64 v[3:4], v36 offset:256
	ds_read_b32 v8, v37 offset:128
	s_mov_b32 s61, exec_lo
	s_waitcnt lgkmcnt(1)
	v_cmp_lt_f64_e64 s7, v[1:2], v[3:4]
	v_cmpx_nlt_f64_e32 v[1:2], v[3:4]
	s_cbranch_execz .LBB8_40
; %bb.39:                               ;   in Loop: Header=BB8_6 Depth=1
	v_cmp_eq_f64_e32 vcc_lo, v[1:2], v[3:4]
	s_waitcnt lgkmcnt(0)
	v_cmp_gt_i32_e64 s6, v7, v8
	s_andn2_b32 s7, s7, exec_lo
	s_and_b32 s6, vcc_lo, s6
	s_and_b32 s6, s6, exec_lo
	s_or_b32 s7, s7, s6
.LBB8_40:                               ;   in Loop: Header=BB8_6 Depth=1
	s_or_b32 exec_lo, exec_lo, s61
	s_and_saveexec_b32 s6, s7
	s_cbranch_execz .LBB8_42
; %bb.41:                               ;   in Loop: Header=BB8_6 Depth=1
	v_mov_b32_e32 v1, v3
	s_waitcnt lgkmcnt(0)
	v_mov_b32_e32 v7, v8
	v_mov_b32_e32 v2, v4
	ds_write_b64 v36, v[3:4]
	ds_write_b32 v37, v8
.LBB8_42:                               ;   in Loop: Header=BB8_6 Depth=1
	s_or_b32 exec_lo, exec_lo, s6
	ds_read_b64 v[3:4], v36 offset:128
	s_waitcnt lgkmcnt(1)
	ds_read_b32 v8, v37 offset:64
	s_mov_b32 s61, exec_lo
	s_waitcnt lgkmcnt(1)
	v_cmp_lt_f64_e64 s7, v[1:2], v[3:4]
	v_cmpx_nlt_f64_e32 v[1:2], v[3:4]
	s_cbranch_execz .LBB8_44
; %bb.43:                               ;   in Loop: Header=BB8_6 Depth=1
	v_cmp_eq_f64_e32 vcc_lo, v[1:2], v[3:4]
	s_waitcnt lgkmcnt(0)
	v_cmp_gt_i32_e64 s6, v7, v8
	s_andn2_b32 s7, s7, exec_lo
	s_and_b32 s6, vcc_lo, s6
	s_and_b32 s6, s6, exec_lo
	s_or_b32 s7, s7, s6
.LBB8_44:                               ;   in Loop: Header=BB8_6 Depth=1
	s_or_b32 exec_lo, exec_lo, s61
	s_and_saveexec_b32 s6, s7
	s_cbranch_execz .LBB8_46
; %bb.45:                               ;   in Loop: Header=BB8_6 Depth=1
	v_mov_b32_e32 v1, v3
	s_waitcnt lgkmcnt(0)
	v_mov_b32_e32 v7, v8
	v_mov_b32_e32 v2, v4
	ds_write_b64 v36, v[3:4]
	ds_write_b32 v37, v8
.LBB8_46:                               ;   in Loop: Header=BB8_6 Depth=1
	s_or_b32 exec_lo, exec_lo, s6
	ds_read_b64 v[3:4], v36 offset:64
	s_waitcnt lgkmcnt(1)
	;; [unrolled: 29-line block ×5, first 2 shown]
	ds_read_b32 v8, v37 offset:4
	s_waitcnt lgkmcnt(1)
	v_cmp_eq_f64_e32 vcc_lo, v[1:2], v[3:4]
	v_cmp_lt_f64_e64 s6, v[1:2], v[3:4]
	s_waitcnt lgkmcnt(0)
	v_cmp_gt_i32_e64 s7, v7, v8
	s_and_b32 s7, vcc_lo, s7
	s_or_b32 s6, s6, s7
	s_and_b32 exec_lo, exec_lo, s6
	s_cbranch_execz .LBB8_60
; %bb.59:                               ;   in Loop: Header=BB8_6 Depth=1
	ds_write_b64 v36, v[3:4]
	ds_write_b32 v37, v8
.LBB8_60:                               ;   in Loop: Header=BB8_6 Depth=1
	s_or_b32 exec_lo, exec_lo, s60
	s_and_saveexec_b32 s6, s0
	s_cbranch_execz .LBB8_62
; %bb.61:                               ;   in Loop: Header=BB8_6 Depth=1
	global_load_dwordx4 v[1:4], v[14:15], off
	s_waitcnt vmcnt(0)
	v_cmp_gt_f64_e32 vcc_lo, 0, v[1:2]
	v_xor_b32_e32 v7, 0x80000000, v2
	v_xor_b32_e32 v8, 0x80000000, v4
	v_cndmask_b32_e32 v2, v2, v7, vcc_lo
	v_cmp_gt_f64_e32 vcc_lo, 0, v[3:4]
	ds_read_b32 v7, v13 offset:2048
	v_cndmask_b32_e32 v4, v4, v8, vcc_lo
	v_add_f64 v[1:2], v[1:2], v[3:4]
	ds_read_b64 v[3:4], v13
	s_waitcnt lgkmcnt(1)
	v_add_nc_u32_e32 v7, v7, v9
	ds_write_b32 v13, v7 offset:3096
	s_waitcnt lgkmcnt(1)
	ds_write_b128 v13, v[1:4] offset:3072
.LBB8_62:                               ;   in Loop: Header=BB8_6 Depth=1
	s_or_b32 exec_lo, exec_lo, s6
	s_waitcnt lgkmcnt(0)
	s_barrier
	buffer_gl0_inv
	ds_read_b128 v[1:4], v13 offset:3072
	v_add_nc_u32_e32 v48, 1, v9
	s_waitcnt lgkmcnt(0)
	v_cmp_lt_f64_e32 vcc_lo, v[1:2], v[3:4]
	v_cndmask_b32_e32 v8, v2, v4, vcc_lo
	v_cndmask_b32_e32 v7, v1, v3, vcc_lo
	v_cmp_neq_f64_e32 vcc_lo, 0, v[7:8]
	s_cbranch_vccz .LBB8_80
; %bb.63:                               ;   in Loop: Header=BB8_6 Depth=1
	v_mul_f64 v[3:4], v[3:4], s[40:41]
	v_cmp_ge_f64_e32 vcc_lo, v[1:2], v[3:4]
	s_cbranch_vccnz .LBB8_175
; %bb.64:                               ;   in Loop: Header=BB8_6 Depth=1
	ds_read_b32 v2, v13 offset:3096
	s_mov_b32 s7, exec_lo
	s_waitcnt lgkmcnt(0)
	v_sub_nc_u32_e32 v1, v2, v9
	v_cmpx_lt_i32_e64 v0, v1
	s_cbranch_execz .LBB8_67
; %bb.65:                               ;   in Loop: Header=BB8_6 Depth=1
	v_add_nc_u32_e32 v3, v0, v9
	v_mov_b32_e32 v12, v0
	s_mov_b32 s60, 0
	v_mad_u64_u32 v[7:8], null, v48, s22, v[3:4]
	v_mov_b32_e32 v8, v13
	v_mad_u64_u32 v[3:4], null, s21, v3, v[2:3]
	v_lshlrev_b64 v[7:8], 4, v[7:8]
	v_add_co_u32 v7, vcc_lo, s50, v7
	v_add_co_ci_u32_e64 v8, null, s51, v8, vcc_lo
	.p2align	6
.LBB8_66:                               ;   Parent Loop BB8_6 Depth=1
                                        ; =>  This Inner Loop Header: Depth=2
	v_ashrrev_i32_e32 v4, 31, v3
	v_add_nc_u32_e32 v12, 0x100, v12
	v_lshlrev_b64 v[18:19], 4, v[3:4]
	v_add_nc_u32_e32 v3, s10, v3
	v_add_co_u32 v18, vcc_lo, s20, v18
	v_add_co_ci_u32_e64 v19, null, s33, v19, vcc_lo
	v_cmp_ge_i32_e32 vcc_lo, v12, v1
	global_load_dwordx4 v[18:21], v[18:19], off
	s_or_b32 s60, vcc_lo, s60
	s_waitcnt vmcnt(0)
	global_store_dwordx4 v[7:8], v[18:21], off
	v_add_co_u32 v7, s6, 0x1000, v7
	v_add_co_ci_u32_e64 v8, null, 0, v8, s6
	s_andn2_b32 exec_lo, exec_lo, s60
	s_cbranch_execnz .LBB8_66
.LBB8_67:                               ;   in Loop: Header=BB8_6 Depth=1
	s_or_b32 exec_lo, exec_lo, s7
	v_sub_nc_u32_e32 v4, s22, v2
	s_mov_b32 s6, exec_lo
                                        ; implicit-def: $vgpr1
	v_cmpx_ge_i32_e64 v0, v4
	s_xor_b32 s6, exec_lo, s6
; %bb.68:                               ;   in Loop: Header=BB8_6 Depth=1
	v_mul_lo_u32 v1, v48, s22
                                        ; implicit-def: $vgpr4
                                        ; implicit-def: $vgpr2
; %bb.69:                               ;   in Loop: Header=BB8_6 Depth=1
	s_andn2_saveexec_b32 s7, s6
	s_cbranch_execz .LBB8_73
; %bb.70:                               ;   in Loop: Header=BB8_6 Depth=1
	v_mul_lo_u32 v1, v48, s22
	v_mov_b32_e32 v12, v0
	s_mov_b32 s60, 0
	v_mad_u64_u32 v[7:8], null, s47, v2, v[0:1]
	v_add3_u32 v2, v0, v2, v1
	v_ashrrev_i32_e32 v3, 31, v2
	v_ashrrev_i32_e32 v8, 31, v7
	v_lshlrev_b64 v[18:19], 4, v[2:3]
	v_lshlrev_b64 v[7:8], 4, v[7:8]
	v_add_co_u32 v2, vcc_lo, s52, v7
	v_add_co_ci_u32_e64 v3, null, s53, v8, vcc_lo
	v_add_co_u32 v7, vcc_lo, s50, v18
	v_add_co_ci_u32_e64 v8, null, s51, v19, vcc_lo
	.p2align	6
.LBB8_71:                               ;   Parent Loop BB8_6 Depth=1
                                        ; =>  This Inner Loop Header: Depth=2
	global_load_dwordx4 v[18:21], v[2:3], off
	v_add_nc_u32_e32 v12, 0x100, v12
	v_add_co_u32 v2, vcc_lo, 0x1000, v2
	v_add_co_ci_u32_e64 v3, null, 0, v3, vcc_lo
	v_cmp_ge_i32_e32 vcc_lo, v12, v4
	s_or_b32 s60, vcc_lo, s60
	s_waitcnt vmcnt(0)
	global_store_dwordx4 v[7:8], v[18:21], off
	v_add_co_u32 v7, s6, 0x1000, v7
	v_add_co_ci_u32_e64 v8, null, 0, v8, s6
	s_andn2_b32 exec_lo, exec_lo, s60
	s_cbranch_execnz .LBB8_71
; %bb.72:                               ;   in Loop: Header=BB8_6 Depth=1
	s_or_b32 exec_lo, exec_lo, s60
.LBB8_73:                               ;   in Loop: Header=BB8_6 Depth=1
	s_or_b32 exec_lo, exec_lo, s7
	v_ashrrev_i32_e32 v2, 31, v1
	s_waitcnt_vscnt null, 0x0
	s_barrier
	buffer_gl0_inv
	s_and_saveexec_b32 s60, s5
	s_cbranch_execz .LBB8_81
; %bb.74:                               ;   in Loop: Header=BB8_6 Depth=1
	ds_read_b32 v7, v13 offset:3096
	v_lshlrev_b64 v[18:19], 4, v[1:2]
	v_add_co_u32 v3, s6, v38, v16
	v_add_co_ci_u32_e64 v4, null, v39, v17, s6
	v_mov_b32_e32 v12, v0
	v_add_co_u32 v30, s6, v27, v18
	v_add_co_ci_u32_e64 v49, null, v28, v19, s6
	s_mov_b32 s61, 0
	v_cmp_ne_u32_e32 vcc_lo, 0, v9
	s_waitcnt lgkmcnt(0)
	v_ashrrev_i32_e32 v8, 31, v7
	v_lshlrev_b64 v[7:8], 4, v[7:8]
	v_add_co_u32 v7, s6, s54, v7
	v_add_co_ci_u32_e64 v8, null, s55, v8, s6
	s_branch .LBB8_76
.LBB8_75:                               ;   in Loop: Header=BB8_76 Depth=2
	s_or_b32 exec_lo, exec_lo, s62
	v_lshlrev_b64 v[22:23], 4, v[12:13]
	v_fma_f64 v[52:53], 0x80000000, v[18:19], -v[20:21]
	v_fma_f64 v[20:21], v[20:21], 0, -v[18:19]
	v_add_nc_u32_e32 v12, 0x100, v12
	v_add_co_u32 v3, s7, 0x1000, v3
	v_add_co_u32 v50, s6, v30, v22
	v_add_co_ci_u32_e64 v51, null, v49, v23, s6
	v_cmp_ge_i32_e64 s6, v12, v29
	v_add_co_ci_u32_e64 v4, null, 0, v4, s7
	global_load_dwordx4 v[22:25], v[50:51], off
	s_or_b32 s61, s6, s61
	s_waitcnt vmcnt(0)
	v_fma_f64 v[18:19], 0x80000000, v[24:25], v[22:23]
	v_fma_f64 v[22:23], v[22:23], 0, v[24:25]
	v_add_f64 v[18:19], v[52:53], v[18:19]
	v_add_f64 v[20:21], v[20:21], v[22:23]
	global_store_dwordx4 v[50:51], v[18:21], off
	s_andn2_b32 exec_lo, exec_lo, s61
	s_cbranch_execz .LBB8_81
.LBB8_76:                               ;   Parent Loop BB8_6 Depth=1
                                        ; =>  This Loop Header: Depth=2
                                        ;       Child Loop BB8_78 Depth 3
	v_mov_b32_e32 v18, 0
	v_mov_b32_e32 v20, 0
	;; [unrolled: 1-line block ×4, first 2 shown]
	s_and_saveexec_b32 s62, vcc_lo
	s_cbranch_execz .LBB8_75
; %bb.77:                               ;   in Loop: Header=BB8_76 Depth=2
	v_mov_b32_e32 v18, 0
	v_mov_b32_e32 v23, v8
	;; [unrolled: 1-line block ×9, first 2 shown]
	s_mov_b32 s63, 0
	.p2align	6
.LBB8_78:                               ;   Parent Loop BB8_6 Depth=1
                                        ;     Parent Loop BB8_76 Depth=2
                                        ; =>    This Inner Loop Header: Depth=3
	global_load_dwordx4 v[51:54], v[22:23], off offset:-8
	global_load_dwordx4 v[55:58], v[24:25], off offset:-8
	v_add_nc_u32_e32 v50, -1, v50
	v_add_co_u32 v24, s6, v24, s12
	v_add_co_ci_u32_e64 v25, null, s13, v25, s6
	v_cmp_eq_u32_e64 s6, 0, v50
	v_add_co_u32 v22, s7, v22, s36
	v_add_co_ci_u32_e64 v23, null, s37, v23, s7
	s_or_b32 s63, s6, s63
	s_waitcnt vmcnt(0)
	v_mul_f64 v[59:60], v[53:54], v[57:58]
	v_mul_f64 v[57:58], v[51:52], v[57:58]
	v_fma_f64 v[51:52], v[51:52], v[55:56], -v[59:60]
	v_fma_f64 v[53:54], v[53:54], v[55:56], v[57:58]
	v_add_f64 v[20:21], v[20:21], v[51:52]
	v_add_f64 v[18:19], v[18:19], v[53:54]
	s_andn2_b32 exec_lo, exec_lo, s63
	s_cbranch_execnz .LBB8_78
; %bb.79:                               ;   in Loop: Header=BB8_76 Depth=2
	s_or_b32 exec_lo, exec_lo, s63
	s_branch .LBB8_75
.LBB8_80:                               ;   in Loop: Header=BB8_6 Depth=1
                                        ; implicit-def: $sgpr7
                                        ; implicit-def: $vgpr18
                                        ; implicit-def: $vgpr3
	s_cbranch_execnz .LBB8_224
	s_branch .LBB8_227
.LBB8_81:                               ;   in Loop: Header=BB8_6 Depth=1
	s_or_b32 exec_lo, exec_lo, s60
	s_waitcnt_vscnt null, 0x0
	s_barrier
	buffer_gl0_inv
	ds_read_b32 v3, v13 offset:3096
	v_bfrev_b32_e32 v12, -2
	s_mov_b32 s60, exec_lo
	s_waitcnt lgkmcnt(0)
	v_sub_nc_u32_e32 v18, v3, v9
	v_mov_b32_e32 v3, 0
	v_mov_b32_e32 v4, 0
	v_cmpx_lt_i32_e64 v0, v18
	s_cbranch_execz .LBB8_85
; %bb.82:                               ;   in Loop: Header=BB8_6 Depth=1
	v_lshlrev_b64 v[3:4], 4, v[1:2]
	v_bfrev_b32_e32 v12, -2
	v_mov_b32_e32 v19, v0
	s_mov_b32 s61, 0
	v_add_co_u32 v7, vcc_lo, v3, v16
	v_add_co_ci_u32_e64 v8, null, v4, v17, vcc_lo
	v_mov_b32_e32 v3, 0
	v_add_co_u32 v7, vcc_lo, v43, v7
	v_mov_b32_e32 v4, 0
	v_add_co_ci_u32_e64 v8, null, v44, v8, vcc_lo
	s_inst_prefetch 0x1
	.p2align	6
.LBB8_83:                               ;   Parent Loop BB8_6 Depth=1
                                        ; =>  This Inner Loop Header: Depth=2
	global_load_dwordx4 v[20:23], v[7:8], off offset:-8
	v_add_co_u32 v7, s7, 0x1000, v7
	v_add_co_ci_u32_e64 v8, null, 0, v8, s7
	s_waitcnt vmcnt(0)
	v_cmp_gt_f64_e32 vcc_lo, 0, v[22:23]
	v_cmp_gt_f64_e64 s6, 0, v[20:21]
	v_xor_b32_e32 v24, 0x80000000, v21
	v_xor_b32_e32 v25, 0x80000000, v23
	v_cndmask_b32_e32 v23, v23, v25, vcc_lo
	v_cndmask_b32_e64 v21, v21, v24, s6
	v_cmp_eq_u32_e64 s6, 0x7fffffff, v12
	v_add_f64 v[20:21], v[20:21], v[22:23]
	v_add_nc_u32_e32 v22, 1, v19
	v_add_nc_u32_e32 v19, 0x100, v19
	v_cmp_ge_i32_e64 s7, v19, v18
	v_cmp_lt_f64_e32 vcc_lo, v[3:4], v[20:21]
	s_or_b32 vcc_lo, vcc_lo, s6
	s_or_b32 s61, s7, s61
	v_cndmask_b32_e32 v12, v12, v22, vcc_lo
	v_cndmask_b32_e32 v4, v4, v21, vcc_lo
	;; [unrolled: 1-line block ×3, first 2 shown]
	s_andn2_b32 exec_lo, exec_lo, s61
	s_cbranch_execnz .LBB8_83
; %bb.84:                               ;   in Loop: Header=BB8_6 Depth=1
	s_inst_prefetch 0x2
	s_or_b32 exec_lo, exec_lo, s61
.LBB8_85:                               ;   in Loop: Header=BB8_6 Depth=1
	s_or_b32 exec_lo, exec_lo, s60
	s_mov_b32 s60, exec_lo
	ds_write_b64 v36, v[3:4]
	ds_write_b32 v37, v12
	s_waitcnt lgkmcnt(0)
	s_barrier
	buffer_gl0_inv
	v_cmpx_lt_i32_e32 1, v18
	s_cbranch_execz .LBB8_121
; %bb.86:                               ;   in Loop: Header=BB8_6 Depth=1
	s_and_saveexec_b32 s7, s1
	s_cbranch_execz .LBB8_92
; %bb.87:                               ;   in Loop: Header=BB8_6 Depth=1
	ds_read_b64 v[7:8], v36 offset:1024
	ds_read_b32 v18, v37 offset:512
	s_mov_b32 s62, exec_lo
	s_waitcnt lgkmcnt(1)
	v_cmp_lt_f64_e64 s61, v[3:4], v[7:8]
	v_cmpx_nlt_f64_e32 v[3:4], v[7:8]
	s_cbranch_execz .LBB8_89
; %bb.88:                               ;   in Loop: Header=BB8_6 Depth=1
	v_cmp_eq_f64_e32 vcc_lo, v[3:4], v[7:8]
	s_waitcnt lgkmcnt(0)
	v_cmp_gt_i32_e64 s6, v12, v18
	s_andn2_b32 s61, s61, exec_lo
	s_and_b32 s6, vcc_lo, s6
	s_and_b32 s6, s6, exec_lo
	s_or_b32 s61, s61, s6
.LBB8_89:                               ;   in Loop: Header=BB8_6 Depth=1
	s_or_b32 exec_lo, exec_lo, s62
	s_and_saveexec_b32 s6, s61
	s_cbranch_execz .LBB8_91
; %bb.90:                               ;   in Loop: Header=BB8_6 Depth=1
	v_mov_b32_e32 v3, v7
	v_mov_b32_e32 v4, v8
	s_waitcnt lgkmcnt(0)
	v_mov_b32_e32 v12, v18
	ds_write_b64 v36, v[7:8]
	ds_write_b32 v37, v18
.LBB8_91:                               ;   in Loop: Header=BB8_6 Depth=1
	s_or_b32 exec_lo, exec_lo, s6
.LBB8_92:                               ;   in Loop: Header=BB8_6 Depth=1
	s_or_b32 exec_lo, exec_lo, s7
	s_waitcnt lgkmcnt(0)
	s_barrier
	buffer_gl0_inv
	s_and_saveexec_b32 s7, s2
	s_cbranch_execz .LBB8_98
; %bb.93:                               ;   in Loop: Header=BB8_6 Depth=1
	ds_read_b64 v[7:8], v36 offset:512
	ds_read_b32 v18, v37 offset:256
	s_mov_b32 s62, exec_lo
	s_waitcnt lgkmcnt(1)
	v_cmp_lt_f64_e64 s61, v[3:4], v[7:8]
	v_cmpx_nlt_f64_e32 v[3:4], v[7:8]
	s_cbranch_execz .LBB8_95
; %bb.94:                               ;   in Loop: Header=BB8_6 Depth=1
	v_cmp_eq_f64_e32 vcc_lo, v[3:4], v[7:8]
	s_waitcnt lgkmcnt(0)
	v_cmp_gt_i32_e64 s6, v12, v18
	s_andn2_b32 s61, s61, exec_lo
	s_and_b32 s6, vcc_lo, s6
	s_and_b32 s6, s6, exec_lo
	s_or_b32 s61, s61, s6
.LBB8_95:                               ;   in Loop: Header=BB8_6 Depth=1
	s_or_b32 exec_lo, exec_lo, s62
	s_and_saveexec_b32 s6, s61
	s_cbranch_execz .LBB8_97
; %bb.96:                               ;   in Loop: Header=BB8_6 Depth=1
	v_mov_b32_e32 v3, v7
	v_mov_b32_e32 v4, v8
	s_waitcnt lgkmcnt(0)
	v_mov_b32_e32 v12, v18
	ds_write_b64 v36, v[7:8]
	ds_write_b32 v37, v18
.LBB8_97:                               ;   in Loop: Header=BB8_6 Depth=1
	s_or_b32 exec_lo, exec_lo, s6
.LBB8_98:                               ;   in Loop: Header=BB8_6 Depth=1
	s_or_b32 exec_lo, exec_lo, s7
	s_waitcnt lgkmcnt(0)
	s_barrier
	buffer_gl0_inv
	s_and_b32 exec_lo, exec_lo, s3
	s_cbranch_execz .LBB8_121
; %bb.99:                               ;   in Loop: Header=BB8_6 Depth=1
	ds_read_b64 v[7:8], v36 offset:256
	ds_read_b32 v18, v37 offset:128
	s_mov_b32 s61, exec_lo
	s_waitcnt lgkmcnt(1)
	v_cmp_lt_f64_e64 s7, v[3:4], v[7:8]
	v_cmpx_nlt_f64_e32 v[3:4], v[7:8]
	s_cbranch_execz .LBB8_101
; %bb.100:                              ;   in Loop: Header=BB8_6 Depth=1
	v_cmp_eq_f64_e32 vcc_lo, v[3:4], v[7:8]
	s_waitcnt lgkmcnt(0)
	v_cmp_gt_i32_e64 s6, v12, v18
	s_andn2_b32 s7, s7, exec_lo
	s_and_b32 s6, vcc_lo, s6
	s_and_b32 s6, s6, exec_lo
	s_or_b32 s7, s7, s6
.LBB8_101:                              ;   in Loop: Header=BB8_6 Depth=1
	s_or_b32 exec_lo, exec_lo, s61
	s_and_saveexec_b32 s6, s7
	s_cbranch_execz .LBB8_103
; %bb.102:                              ;   in Loop: Header=BB8_6 Depth=1
	v_mov_b32_e32 v3, v7
	s_waitcnt lgkmcnt(0)
	v_mov_b32_e32 v12, v18
	v_mov_b32_e32 v4, v8
	ds_write_b64 v36, v[7:8]
	ds_write_b32 v37, v18
.LBB8_103:                              ;   in Loop: Header=BB8_6 Depth=1
	s_or_b32 exec_lo, exec_lo, s6
	ds_read_b64 v[7:8], v36 offset:128
	s_waitcnt lgkmcnt(1)
	ds_read_b32 v18, v37 offset:64
	s_mov_b32 s61, exec_lo
	s_waitcnt lgkmcnt(1)
	v_cmp_lt_f64_e64 s7, v[3:4], v[7:8]
	v_cmpx_nlt_f64_e32 v[3:4], v[7:8]
	s_cbranch_execz .LBB8_105
; %bb.104:                              ;   in Loop: Header=BB8_6 Depth=1
	v_cmp_eq_f64_e32 vcc_lo, v[3:4], v[7:8]
	s_waitcnt lgkmcnt(0)
	v_cmp_gt_i32_e64 s6, v12, v18
	s_andn2_b32 s7, s7, exec_lo
	s_and_b32 s6, vcc_lo, s6
	s_and_b32 s6, s6, exec_lo
	s_or_b32 s7, s7, s6
.LBB8_105:                              ;   in Loop: Header=BB8_6 Depth=1
	s_or_b32 exec_lo, exec_lo, s61
	s_and_saveexec_b32 s6, s7
	s_cbranch_execz .LBB8_107
; %bb.106:                              ;   in Loop: Header=BB8_6 Depth=1
	v_mov_b32_e32 v3, v7
	s_waitcnt lgkmcnt(0)
	v_mov_b32_e32 v12, v18
	v_mov_b32_e32 v4, v8
	ds_write_b64 v36, v[7:8]
	ds_write_b32 v37, v18
.LBB8_107:                              ;   in Loop: Header=BB8_6 Depth=1
	s_or_b32 exec_lo, exec_lo, s6
	ds_read_b64 v[7:8], v36 offset:64
	s_waitcnt lgkmcnt(1)
	;; [unrolled: 29-line block ×5, first 2 shown]
	ds_read_b32 v18, v37 offset:4
	s_waitcnt lgkmcnt(1)
	v_cmp_eq_f64_e32 vcc_lo, v[3:4], v[7:8]
	v_cmp_lt_f64_e64 s6, v[3:4], v[7:8]
	s_waitcnt lgkmcnt(0)
	v_cmp_gt_i32_e64 s7, v12, v18
	s_and_b32 s7, vcc_lo, s7
	s_or_b32 s6, s6, s7
	s_and_b32 exec_lo, exec_lo, s6
	s_cbranch_execz .LBB8_121
; %bb.120:                              ;   in Loop: Header=BB8_6 Depth=1
	ds_write_b64 v36, v[7:8]
	ds_write_b32 v37, v18
.LBB8_121:                              ;   in Loop: Header=BB8_6 Depth=1
	s_or_b32 exec_lo, exec_lo, s60
	s_and_saveexec_b32 s6, s0
	s_cbranch_execz .LBB8_123
; %bb.122:                              ;   in Loop: Header=BB8_6 Depth=1
	ds_read_b64 v[3:4], v13
	s_waitcnt lgkmcnt(0)
	ds_write_b64 v13, v[3:4] offset:3088
.LBB8_123:                              ;   in Loop: Header=BB8_6 Depth=1
	s_or_b32 exec_lo, exec_lo, s6
	ds_read_b32 v3, v13 offset:3096
	s_waitcnt lgkmcnt(0)
	v_cmp_le_i32_e32 vcc_lo, s46, v3
	v_readfirstlane_b32 s6, v3
	s_cbranch_vccnz .LBB8_168
; %bb.124:                              ;   in Loop: Header=BB8_6 Depth=1
	v_mov_b32_e32 v3, 0
	v_mov_b32_e32 v4, 0
	v_bfrev_b32_e32 v12, -2
	s_not_b32 s7, s6
	s_mov_b32 s61, exec_lo
	s_add_i32 s60, s22, s7
	v_cmpx_gt_i32_e64 s60, v0
	s_cbranch_execz .LBB8_128
; %bb.125:                              ;   in Loop: Header=BB8_6 Depth=1
	v_lshlrev_b64 v[2:3], 4, v[1:2]
	s_ashr_i32 s7, s6, 31
	v_bfrev_b32_e32 v12, -2
	s_lshl_b64 s[6:7], s[6:7], 4
	s_mov_b32 s62, 0
	v_add_co_u32 v2, vcc_lo, s6, v2
	v_add_co_ci_u32_e64 v3, null, s7, v3, vcc_lo
	v_add_co_u32 v7, vcc_lo, v40, v2
	v_add_co_ci_u32_e64 v8, null, v41, v3, vcc_lo
	v_mov_b32_e32 v3, 0
	v_mov_b32_e32 v4, 0
	;; [unrolled: 1-line block ×3, first 2 shown]
	s_inst_prefetch 0x1
	.p2align	6
.LBB8_126:                              ;   Parent Loop BB8_6 Depth=1
                                        ; =>  This Inner Loop Header: Depth=2
	global_load_dwordx4 v[18:21], v[7:8], off
	v_add_co_u32 v7, s7, 0x1000, v7
	v_add_co_ci_u32_e64 v8, null, 0, v8, s7
	s_waitcnt vmcnt(0)
	v_cmp_gt_f64_e32 vcc_lo, 0, v[20:21]
	v_cmp_gt_f64_e64 s6, 0, v[18:19]
	v_xor_b32_e32 v22, 0x80000000, v19
	v_xor_b32_e32 v23, 0x80000000, v21
	v_cndmask_b32_e32 v21, v21, v23, vcc_lo
	v_cndmask_b32_e64 v19, v19, v22, s6
	v_cmp_eq_u32_e64 s6, 0x7fffffff, v12
	v_add_f64 v[18:19], v[18:19], v[20:21]
	v_add_nc_u32_e32 v20, 1, v2
	v_add_nc_u32_e32 v2, 0x100, v2
	v_cmp_le_i32_e64 s7, s60, v2
	v_cmp_lt_f64_e32 vcc_lo, v[3:4], v[18:19]
	s_or_b32 vcc_lo, vcc_lo, s6
	s_or_b32 s62, s7, s62
	v_cndmask_b32_e32 v12, v12, v20, vcc_lo
	v_cndmask_b32_e32 v4, v4, v19, vcc_lo
	;; [unrolled: 1-line block ×3, first 2 shown]
	s_andn2_b32 exec_lo, exec_lo, s62
	s_cbranch_execnz .LBB8_126
; %bb.127:                              ;   in Loop: Header=BB8_6 Depth=1
	s_inst_prefetch 0x2
	s_or_b32 exec_lo, exec_lo, s62
.LBB8_128:                              ;   in Loop: Header=BB8_6 Depth=1
	s_or_b32 exec_lo, exec_lo, s61
	s_cmp_lt_i32 s60, 2
	ds_write_b64 v36, v[3:4]
	ds_write_b32 v37, v12
	s_waitcnt lgkmcnt(0)
	s_barrier
	buffer_gl0_inv
	s_cbranch_scc1 .LBB8_165
; %bb.129:                              ;   in Loop: Header=BB8_6 Depth=1
	s_and_saveexec_b32 s7, s1
	s_cbranch_execz .LBB8_135
; %bb.130:                              ;   in Loop: Header=BB8_6 Depth=1
	ds_read_b64 v[7:8], v36 offset:1024
	ds_read_b32 v2, v37 offset:512
	s_mov_b32 s61, exec_lo
	s_waitcnt lgkmcnt(1)
	v_cmp_lt_f64_e64 s60, v[3:4], v[7:8]
	v_cmpx_nlt_f64_e32 v[3:4], v[7:8]
	s_cbranch_execz .LBB8_132
; %bb.131:                              ;   in Loop: Header=BB8_6 Depth=1
	v_cmp_eq_f64_e32 vcc_lo, v[3:4], v[7:8]
	s_waitcnt lgkmcnt(0)
	v_cmp_gt_i32_e64 s6, v12, v2
	s_andn2_b32 s60, s60, exec_lo
	s_and_b32 s6, vcc_lo, s6
	s_and_b32 s6, s6, exec_lo
	s_or_b32 s60, s60, s6
.LBB8_132:                              ;   in Loop: Header=BB8_6 Depth=1
	s_or_b32 exec_lo, exec_lo, s61
	s_and_saveexec_b32 s6, s60
	s_cbranch_execz .LBB8_134
; %bb.133:                              ;   in Loop: Header=BB8_6 Depth=1
	v_mov_b32_e32 v3, v7
	v_mov_b32_e32 v4, v8
	s_waitcnt lgkmcnt(0)
	v_mov_b32_e32 v12, v2
	ds_write_b64 v36, v[7:8]
	ds_write_b32 v37, v2
.LBB8_134:                              ;   in Loop: Header=BB8_6 Depth=1
	s_or_b32 exec_lo, exec_lo, s6
.LBB8_135:                              ;   in Loop: Header=BB8_6 Depth=1
	s_or_b32 exec_lo, exec_lo, s7
	s_waitcnt lgkmcnt(0)
	s_barrier
	buffer_gl0_inv
	s_and_saveexec_b32 s7, s2
	s_cbranch_execz .LBB8_141
; %bb.136:                              ;   in Loop: Header=BB8_6 Depth=1
	ds_read_b64 v[7:8], v36 offset:512
	ds_read_b32 v2, v37 offset:256
	s_mov_b32 s61, exec_lo
	s_waitcnt lgkmcnt(1)
	v_cmp_lt_f64_e64 s60, v[3:4], v[7:8]
	v_cmpx_nlt_f64_e32 v[3:4], v[7:8]
	s_cbranch_execz .LBB8_138
; %bb.137:                              ;   in Loop: Header=BB8_6 Depth=1
	v_cmp_eq_f64_e32 vcc_lo, v[3:4], v[7:8]
	s_waitcnt lgkmcnt(0)
	v_cmp_gt_i32_e64 s6, v12, v2
	s_andn2_b32 s60, s60, exec_lo
	s_and_b32 s6, vcc_lo, s6
	s_and_b32 s6, s6, exec_lo
	s_or_b32 s60, s60, s6
.LBB8_138:                              ;   in Loop: Header=BB8_6 Depth=1
	s_or_b32 exec_lo, exec_lo, s61
	s_and_saveexec_b32 s6, s60
	s_cbranch_execz .LBB8_140
; %bb.139:                              ;   in Loop: Header=BB8_6 Depth=1
	v_mov_b32_e32 v3, v7
	v_mov_b32_e32 v4, v8
	s_waitcnt lgkmcnt(0)
	v_mov_b32_e32 v12, v2
	ds_write_b64 v36, v[7:8]
	ds_write_b32 v37, v2
.LBB8_140:                              ;   in Loop: Header=BB8_6 Depth=1
	s_or_b32 exec_lo, exec_lo, s6
.LBB8_141:                              ;   in Loop: Header=BB8_6 Depth=1
	s_or_b32 exec_lo, exec_lo, s7
	s_waitcnt lgkmcnt(0)
	s_barrier
	buffer_gl0_inv
	s_and_saveexec_b32 s60, s3
	s_cbranch_execz .LBB8_164
; %bb.142:                              ;   in Loop: Header=BB8_6 Depth=1
	ds_read_b64 v[7:8], v36 offset:256
	ds_read_b32 v2, v37 offset:128
	s_mov_b32 s61, exec_lo
	s_waitcnt lgkmcnt(1)
	v_cmp_lt_f64_e64 s7, v[3:4], v[7:8]
	v_cmpx_nlt_f64_e32 v[3:4], v[7:8]
	s_cbranch_execz .LBB8_144
; %bb.143:                              ;   in Loop: Header=BB8_6 Depth=1
	v_cmp_eq_f64_e32 vcc_lo, v[3:4], v[7:8]
	s_waitcnt lgkmcnt(0)
	v_cmp_gt_i32_e64 s6, v12, v2
	s_andn2_b32 s7, s7, exec_lo
	s_and_b32 s6, vcc_lo, s6
	s_and_b32 s6, s6, exec_lo
	s_or_b32 s7, s7, s6
.LBB8_144:                              ;   in Loop: Header=BB8_6 Depth=1
	s_or_b32 exec_lo, exec_lo, s61
	s_and_saveexec_b32 s6, s7
	s_cbranch_execz .LBB8_146
; %bb.145:                              ;   in Loop: Header=BB8_6 Depth=1
	v_mov_b32_e32 v3, v7
	s_waitcnt lgkmcnt(0)
	v_mov_b32_e32 v12, v2
	v_mov_b32_e32 v4, v8
	ds_write_b64 v36, v[7:8]
	ds_write_b32 v37, v2
.LBB8_146:                              ;   in Loop: Header=BB8_6 Depth=1
	s_or_b32 exec_lo, exec_lo, s6
	ds_read_b64 v[7:8], v36 offset:128
	s_waitcnt lgkmcnt(1)
	ds_read_b32 v2, v37 offset:64
	s_mov_b32 s61, exec_lo
	s_waitcnt lgkmcnt(1)
	v_cmp_lt_f64_e64 s7, v[3:4], v[7:8]
	v_cmpx_nlt_f64_e32 v[3:4], v[7:8]
	s_cbranch_execz .LBB8_148
; %bb.147:                              ;   in Loop: Header=BB8_6 Depth=1
	v_cmp_eq_f64_e32 vcc_lo, v[3:4], v[7:8]
	s_waitcnt lgkmcnt(0)
	v_cmp_gt_i32_e64 s6, v12, v2
	s_andn2_b32 s7, s7, exec_lo
	s_and_b32 s6, vcc_lo, s6
	s_and_b32 s6, s6, exec_lo
	s_or_b32 s7, s7, s6
.LBB8_148:                              ;   in Loop: Header=BB8_6 Depth=1
	s_or_b32 exec_lo, exec_lo, s61
	s_and_saveexec_b32 s6, s7
	s_cbranch_execz .LBB8_150
; %bb.149:                              ;   in Loop: Header=BB8_6 Depth=1
	v_mov_b32_e32 v3, v7
	s_waitcnt lgkmcnt(0)
	v_mov_b32_e32 v12, v2
	v_mov_b32_e32 v4, v8
	ds_write_b64 v36, v[7:8]
	ds_write_b32 v37, v2
.LBB8_150:                              ;   in Loop: Header=BB8_6 Depth=1
	s_or_b32 exec_lo, exec_lo, s6
	ds_read_b64 v[7:8], v36 offset:64
	s_waitcnt lgkmcnt(1)
	;; [unrolled: 29-line block ×5, first 2 shown]
	ds_read_b32 v2, v37 offset:4
	s_waitcnt lgkmcnt(1)
	v_cmp_eq_f64_e32 vcc_lo, v[3:4], v[7:8]
	v_cmp_lt_f64_e64 s6, v[3:4], v[7:8]
	s_waitcnt lgkmcnt(0)
	v_cmp_gt_i32_e64 s7, v12, v2
	s_and_b32 s7, vcc_lo, s7
	s_or_b32 s6, s6, s7
	s_and_b32 exec_lo, exec_lo, s6
	s_cbranch_execz .LBB8_164
; %bb.163:                              ;   in Loop: Header=BB8_6 Depth=1
	ds_write_b64 v36, v[7:8]
	ds_write_b32 v37, v2
.LBB8_164:                              ;   in Loop: Header=BB8_6 Depth=1
	s_or_b32 exec_lo, exec_lo, s60
.LBB8_165:                              ;   in Loop: Header=BB8_6 Depth=1
	s_and_saveexec_b32 s6, s0
	s_cbranch_execz .LBB8_167
; %bb.166:                              ;   in Loop: Header=BB8_6 Depth=1
	ds_read_b64 v[2:3], v13 offset:3088
	ds_read_b64 v[7:8], v13
	s_waitcnt lgkmcnt(0)
	v_cmp_lt_f64_e32 vcc_lo, v[2:3], v[7:8]
	v_cndmask_b32_e32 v3, v3, v8, vcc_lo
	v_cndmask_b32_e32 v2, v2, v7, vcc_lo
	ds_write_b64 v13, v[2:3] offset:3088
.LBB8_167:                              ;   in Loop: Header=BB8_6 Depth=1
	s_or_b32 exec_lo, exec_lo, s6
.LBB8_168:                              ;   in Loop: Header=BB8_6 Depth=1
	s_waitcnt lgkmcnt(0)
	s_barrier
	buffer_gl0_inv
	ds_read_b128 v[18:21], v13 offset:3072
	ds_read_b64 v[2:3], v13 offset:3088
	s_waitcnt lgkmcnt(0)
	v_div_scale_f64 v[7:8], null, v[2:3], v[2:3], v[20:21]
	v_rcp_f64_e32 v[22:23], v[7:8]
	v_fma_f64 v[24:25], -v[7:8], v[22:23], 1.0
	v_fma_f64 v[22:23], v[22:23], v[24:25], v[22:23]
	v_fma_f64 v[24:25], -v[7:8], v[22:23], 1.0
	v_fma_f64 v[22:23], v[22:23], v[24:25], v[22:23]
	v_div_scale_f64 v[24:25], vcc_lo, v[20:21], v[2:3], v[20:21]
	v_mul_f64 v[49:50], v[24:25], v[22:23]
	v_fma_f64 v[7:8], -v[7:8], v[49:50], v[24:25]
	v_div_fmas_f64 v[7:8], v[7:8], v[22:23], v[49:50]
	v_mul_f64 v[22:23], v[20:21], s[40:41]
	v_div_fixup_f64 v[7:8], v[7:8], v[2:3], v[20:21]
	v_mul_f64 v[7:8], v[22:23], v[7:8]
	v_cmp_ge_f64_e32 vcc_lo, v[18:19], v[7:8]
	s_cbranch_vccnz .LBB8_175
; %bb.169:                              ;   in Loop: Header=BB8_6 Depth=1
	ds_read_b32 v18, v13 offset:3096
	v_mul_f64 v[2:3], v[2:3], s[40:41]
	s_mov_b32 s60, 0
	s_mov_b32 s6, exec_lo
	s_waitcnt lgkmcnt(0)
	v_add_nc_u32_e32 v7, v18, v1
	v_ashrrev_i32_e32 v8, 31, v7
	v_lshlrev_b64 v[7:8], 4, v[7:8]
	v_add_co_u32 v7, vcc_lo, s8, v7
	v_add_co_ci_u32_e64 v8, null, s9, v8, vcc_lo
	global_load_dwordx4 v[19:22], v[7:8], off
	s_waitcnt vmcnt(0)
	v_cmp_gt_f64_e32 vcc_lo, 0, v[19:20]
	v_xor_b32_e32 v4, 0x80000000, v20
	v_xor_b32_e32 v7, 0x80000000, v22
	v_cndmask_b32_e32 v20, v20, v4, vcc_lo
	v_cmp_gt_f64_e32 vcc_lo, 0, v[21:22]
	v_mov_b32_e32 v4, 2
	v_cndmask_b32_e32 v22, v22, v7, vcc_lo
	v_add_f64 v[7:8], v[19:20], v[21:22]
	v_cmpx_ge_f64_e32 v[7:8], v[2:3]
	s_cbranch_execz .LBB8_174
; %bb.170:                              ;   in Loop: Header=BB8_6 Depth=1
	s_and_saveexec_b32 s7, s5
	s_cbranch_execz .LBB8_173
; %bb.171:                              ;   in Loop: Header=BB8_6 Depth=1
	v_add3_u32 v1, v0, v9, v1
	v_mov_b32_e32 v7, v0
	v_mad_u64_u32 v[3:4], null, s49, v9, v[0:1]
	v_ashrrev_i32_e32 v2, 31, v1
	v_lshlrev_b64 v[1:2], 4, v[1:2]
	v_ashrrev_i32_e32 v4, 31, v3
	v_add_co_u32 v1, vcc_lo, s50, v1
	v_lshlrev_b64 v[3:4], 4, v[3:4]
	v_add_co_ci_u32_e64 v2, null, s51, v2, vcc_lo
	v_add_co_u32 v3, vcc_lo, s50, v3
	v_add_co_ci_u32_e64 v4, null, s51, v4, vcc_lo
	.p2align	6
.LBB8_172:                              ;   Parent Loop BB8_6 Depth=1
                                        ; =>  This Inner Loop Header: Depth=2
	global_load_dwordx4 v[19:22], v[1:2], off
	v_add_nc_u32_e32 v7, 0x100, v7
	v_add_co_u32 v1, vcc_lo, 0x1000, v1
	v_add_co_ci_u32_e64 v2, null, 0, v2, vcc_lo
	v_cmp_ge_i32_e32 vcc_lo, v7, v29
	s_or_b32 s60, vcc_lo, s60
	s_waitcnt vmcnt(0)
	global_store_dwordx4 v[3:4], v[19:22], off
	v_add_co_u32 v3, s5, 0x1000, v3
	v_add_co_ci_u32_e64 v4, null, 0, v4, s5
	s_andn2_b32 exec_lo, exec_lo, s60
	s_cbranch_execnz .LBB8_172
.LBB8_173:                              ;   in Loop: Header=BB8_6 Depth=1
	s_or_b32 exec_lo, exec_lo, s7
	v_mov_b32_e32 v4, 1
	s_mov_b32 s60, exec_lo
	s_waitcnt_vscnt null, 0x0
	s_barrier
	buffer_gl0_inv
.LBB8_174:                              ;   in Loop: Header=BB8_6 Depth=1
	s_or_b32 exec_lo, exec_lo, s6
	s_branch .LBB8_176
.LBB8_175:                              ;   in Loop: Header=BB8_6 Depth=1
	v_mov_b32_e32 v4, 1
	v_mov_b32_e32 v18, v9
	s_mov_b32 s60, -1
.LBB8_176:                              ;   in Loop: Header=BB8_6 Depth=1
	v_add_nc_u32_e32 v1, v4, v9
	s_mov_b32 s61, exec_lo
	v_add_nc_u32_e32 v12, -1, v1
	v_cmpx_ne_u32_e64 v18, v12
	s_cbranch_execz .LBB8_192
; %bb.177:                              ;   in Loop: Header=BB8_6 Depth=1
	s_and_saveexec_b32 s5, s0
	s_cbranch_execz .LBB8_179
; %bb.178:                              ;   in Loop: Header=BB8_6 Depth=1
	v_mul_lo_u32 v2, v12, s47
	v_ashrrev_i32_e32 v3, 31, v2
	v_lshlrev_b64 v[2:3], 4, v[2:3]
	v_add_co_u32 v2, vcc_lo, s20, v2
	v_add_co_ci_u32_e64 v3, null, s33, v3, vcc_lo
	global_load_dwordx4 v[19:22], v[2:3], off
	v_mul_lo_u32 v2, v18, s47
	v_ashrrev_i32_e32 v3, 31, v2
	v_lshlrev_b64 v[2:3], 4, v[2:3]
	v_add_co_u32 v2, vcc_lo, s20, v2
	v_add_co_ci_u32_e64 v3, null, s33, v3, vcc_lo
	s_waitcnt vmcnt(0)
	global_store_dwordx4 v[2:3], v[19:22], off
.LBB8_179:                              ;   in Loop: Header=BB8_6 Depth=1
	s_or_b32 exec_lo, exec_lo, s5
	v_sub_nc_u32_e32 v19, v18, v1
	s_mov_b32 s6, exec_lo
	v_cmpx_lt_i32_e64 v0, v19
	s_cbranch_execz .LBB8_182
; %bb.180:                              ;   in Loop: Header=BB8_6 Depth=1
	v_add3_u32 v2, v0, v4, v9
	s_mov_b32 s7, 0
	v_mad_u64_u32 v[2:3], null, s21, v2, v[18:19]
	v_mad_u64_u32 v[7:8], null, v12, s21, v[1:2]
	v_mov_b32_e32 v8, v0
	.p2align	6
.LBB8_181:                              ;   Parent Loop BB8_6 Depth=1
                                        ; =>  This Inner Loop Header: Depth=2
	v_add_nc_u32_e32 v20, v7, v8
	v_ashrrev_i32_e32 v3, 31, v2
	v_add_nc_u32_e32 v8, 0x100, v8
	v_ashrrev_i32_e32 v21, 31, v20
	v_lshlrev_b64 v[24:25], 4, v[2:3]
	v_add_nc_u32_e32 v2, s10, v2
	v_lshlrev_b64 v[20:21], 4, v[20:21]
	v_add_co_u32 v24, s5, s20, v24
	v_add_co_ci_u32_e64 v25, null, s33, v25, s5
	v_add_co_u32 v20, vcc_lo, s20, v20
	v_add_co_ci_u32_e64 v21, null, s33, v21, vcc_lo
	v_cmp_ge_i32_e32 vcc_lo, v8, v19
	global_load_dwordx4 v[20:23], v[20:21], off
	s_or_b32 s7, vcc_lo, s7
	s_waitcnt vmcnt(0)
	global_store_dwordx4 v[24:25], v[20:23], off
	s_andn2_b32 exec_lo, exec_lo, s7
	s_cbranch_execnz .LBB8_181
.LBB8_182:                              ;   in Loop: Header=BB8_6 Depth=1
	s_or_b32 exec_lo, exec_lo, s6
	v_xad_u32 v7, v18, -1, s22
	s_mov_b32 s6, exec_lo
	v_cmpx_lt_i32_e64 v0, v7
	s_cbranch_execz .LBB8_185
; %bb.183:                              ;   in Loop: Header=BB8_6 Depth=1
	v_mul_lo_u32 v8, v12, s21
	v_mad_u64_u32 v[2:3], null, s47, v18, 1
	s_mov_b32 s7, 0
	v_add3_u32 v3, v18, v8, 1
	v_mov_b32_e32 v8, v0
	.p2align	6
.LBB8_184:                              ;   Parent Loop BB8_6 Depth=1
                                        ; =>  This Inner Loop Header: Depth=2
	v_add_nc_u32_e32 v19, v3, v8
	v_add_nc_u32_e32 v23, v2, v8
	;; [unrolled: 1-line block ×3, first 2 shown]
	v_ashrrev_i32_e32 v20, 31, v19
	v_ashrrev_i32_e32 v24, 31, v23
	v_lshlrev_b64 v[19:20], 4, v[19:20]
	v_lshlrev_b64 v[23:24], 4, v[23:24]
	v_add_co_u32 v19, vcc_lo, s20, v19
	v_add_co_ci_u32_e64 v20, null, s33, v20, vcc_lo
	v_cmp_ge_i32_e32 vcc_lo, v8, v7
	v_add_co_u32 v23, s5, s20, v23
	global_load_dwordx4 v[19:22], v[19:20], off
	v_add_co_ci_u32_e64 v24, null, s33, v24, s5
	s_or_b32 s7, vcc_lo, s7
	s_waitcnt vmcnt(0)
	global_store_dwordx4 v[23:24], v[19:22], off
	s_andn2_b32 exec_lo, exec_lo, s7
	s_cbranch_execnz .LBB8_184
.LBB8_185:                              ;   in Loop: Header=BB8_6 Depth=1
	s_or_b32 exec_lo, exec_lo, s6
	s_mov_b32 s5, exec_lo
	s_waitcnt_vscnt null, 0x0
	s_barrier
	buffer_gl0_inv
	v_cmpx_lt_u32_e64 v0, v9
	s_cbranch_execz .LBB8_188
; %bb.186:                              ;   in Loop: Header=BB8_6 Depth=1
	v_ashrrev_i32_e32 v2, 31, v1
	v_mov_b32_e32 v3, v45
	v_mov_b32_e32 v7, v0
	s_mov_b32 s6, 0
	s_inst_prefetch 0x1
	.p2align	6
.LBB8_187:                              ;   Parent Loop BB8_6 Depth=1
                                        ; =>  This Inner Loop Header: Depth=2
	v_ashrrev_i32_e32 v8, 31, v3
	v_add_nc_u32_e32 v19, v18, v3
	v_add_co_u32 v21, vcc_lo, v3, v1
	v_add_nc_u32_e32 v7, 0x100, v7
	v_add_co_ci_u32_e64 v22, null, v8, v2, vcc_lo
	v_ashrrev_i32_e32 v20, 31, v19
	v_add_nc_u32_e32 v3, s10, v3
	v_lshlrev_b64 v[21:22], 4, v[21:22]
	v_lshlrev_b64 v[19:20], 4, v[19:20]
	v_add_co_u32 v23, vcc_lo, s20, v21
	v_add_co_ci_u32_e64 v24, null, s33, v22, vcc_lo
	v_add_co_u32 v29, vcc_lo, s20, v19
	v_add_co_ci_u32_e64 v30, null, s33, v20, vcc_lo
	s_clause 0x1
	global_load_dwordx4 v[19:22], v[23:24], off offset:-16
	global_load_dwordx4 v[49:52], v[29:30], off
	v_cmp_ge_u32_e32 vcc_lo, v7, v9
	s_or_b32 s6, vcc_lo, s6
	s_waitcnt vmcnt(1)
	ds_write2_b64 v35, v[19:20], v[21:22] offset1:1
	s_waitcnt vmcnt(0)
	global_store_dwordx4 v[23:24], v[49:52], off offset:-16
	global_store_dwordx4 v[29:30], v[19:22], off
	s_andn2_b32 exec_lo, exec_lo, s6
	s_cbranch_execnz .LBB8_187
.LBB8_188:                              ;   in Loop: Header=BB8_6 Depth=1
	s_inst_prefetch 0x2
	s_or_b32 exec_lo, exec_lo, s5
	v_cmp_lt_u32_e32 vcc_lo, v0, v1
	s_and_b32 exec_lo, exec_lo, vcc_lo
	s_cbranch_execz .LBB8_191
; %bb.189:                              ;   in Loop: Header=BB8_6 Depth=1
	v_add_co_u32 v3, vcc_lo, v42, v4
	v_add_co_ci_u32_e64 v4, null, 0, v46, vcc_lo
	v_add_nc_u32_e32 v2, v42, v18
	v_add_co_u32 v7, vcc_lo, v3, v9
	v_add_co_ci_u32_e64 v8, null, 0, v4, vcc_lo
	v_ashrrev_i32_e32 v3, 31, v2
	s_mov_b32 s5, 0
	s_mov_b64 s[6:7], s[8:9]
	v_lshlrev_b64 v[7:8], 4, v[7:8]
	v_lshlrev_b64 v[2:3], 4, v[2:3]
	v_add_co_u32 v4, vcc_lo, v7, -16
	v_add_co_ci_u32_e64 v7, null, -1, v8, vcc_lo
	v_mov_b32_e32 v8, v0
	.p2align	6
.LBB8_190:                              ;   Parent Loop BB8_6 Depth=1
                                        ; =>  This Inner Loop Header: Depth=2
	v_add_co_u32 v23, vcc_lo, s6, v4
	v_add_co_ci_u32_e64 v24, null, s7, v7, vcc_lo
	v_add_co_u32 v29, vcc_lo, s6, v2
	v_add_co_ci_u32_e64 v30, null, s7, v3, vcc_lo
	s_clause 0x1
	global_load_dwordx4 v[19:22], v[23:24], off
	global_load_dwordx4 v[49:52], v[29:30], off
	v_add_nc_u32_e32 v8, 0x100, v8
	s_add_u32 s6, s6, s38
	s_addc_u32 s7, s7, s39
	v_cmp_ge_u32_e32 vcc_lo, v8, v1
	s_or_b32 s5, vcc_lo, s5
	s_waitcnt vmcnt(1)
	ds_write2_b64 v34, v[19:20], v[21:22] offset1:1
	s_waitcnt vmcnt(0)
	global_store_dwordx4 v[23:24], v[49:52], off
	global_store_dwordx4 v[29:30], v[19:22], off
	s_andn2_b32 exec_lo, exec_lo, s5
	s_cbranch_execnz .LBB8_190
.LBB8_191:                              ;   in Loop: Header=BB8_6 Depth=1
	s_waitcnt lgkmcnt(0)
	s_waitcnt_vscnt null, 0x0
	s_barrier
	buffer_gl0_inv
.LBB8_192:                              ;   in Loop: Header=BB8_6 Depth=1
	s_or_b32 exec_lo, exec_lo, s61
	s_xor_b32 s5, s60, -1
	s_and_saveexec_b32 s6, s5
	s_xor_b32 s6, exec_lo, s6
	s_cbranch_execz .LBB8_212
; %bb.193:                              ;   in Loop: Header=BB8_6 Depth=1
	s_mov_b32 s7, exec_lo
	v_cmpx_gt_i32_e64 s48, v9
	s_cbranch_execz .LBB8_209
; %bb.194:                              ;   in Loop: Header=BB8_6 Depth=1
	global_load_dwordx4 v[1:4], v[14:15], off offset:16
	v_mul_lo_u32 v12, v48, s22
                                        ; implicit-def: $vgpr19_vgpr20
                                        ; implicit-def: $vgpr21_vgpr22
	v_lshlrev_b64 v[5:6], 4, v[12:13]
	v_add_co_u32 v5, vcc_lo, v27, v5
	v_add_co_ci_u32_e64 v6, null, v28, v6, vcc_lo
	global_load_dwordx4 v[5:8], v[5:6], off offset:16
	s_waitcnt vmcnt(1)
	v_cmp_ngt_f64_e64 s5, |v[1:2]|, |v[3:4]|
	s_and_saveexec_b32 s60, s5
	s_xor_b32 s60, exec_lo, s60
	s_cbranch_execz .LBB8_196
; %bb.195:                              ;   in Loop: Header=BB8_6 Depth=1
	v_div_scale_f64 v[19:20], null, v[3:4], v[3:4], v[1:2]
	v_div_scale_f64 v[25:26], vcc_lo, v[1:2], v[3:4], v[1:2]
	v_rcp_f64_e32 v[21:22], v[19:20]
	v_fma_f64 v[23:24], -v[19:20], v[21:22], 1.0
	v_fma_f64 v[21:22], v[21:22], v[23:24], v[21:22]
	v_fma_f64 v[23:24], -v[19:20], v[21:22], 1.0
	v_fma_f64 v[21:22], v[21:22], v[23:24], v[21:22]
	v_mul_f64 v[23:24], v[25:26], v[21:22]
	v_fma_f64 v[19:20], -v[19:20], v[23:24], v[25:26]
	v_div_fmas_f64 v[19:20], v[19:20], v[21:22], v[23:24]
	v_div_fixup_f64 v[19:20], v[19:20], v[3:4], v[1:2]
	v_fma_f64 v[21:22], v[1:2], v[19:20], v[3:4]
	v_div_scale_f64 v[23:24], null, v[21:22], v[21:22], 1.0
	v_div_scale_f64 v[29:30], vcc_lo, 1.0, v[21:22], 1.0
	v_rcp_f64_e32 v[25:26], v[23:24]
	v_fma_f64 v[27:28], -v[23:24], v[25:26], 1.0
	v_fma_f64 v[25:26], v[25:26], v[27:28], v[25:26]
	v_fma_f64 v[27:28], -v[23:24], v[25:26], 1.0
	v_fma_f64 v[25:26], v[25:26], v[27:28], v[25:26]
	v_mul_f64 v[27:28], v[29:30], v[25:26]
	v_fma_f64 v[23:24], -v[23:24], v[27:28], v[29:30]
	v_div_fmas_f64 v[23:24], v[23:24], v[25:26], v[27:28]
	s_waitcnt vmcnt(0)
	v_fma_f64 v[25:26], v[19:20], v[5:6], v[7:8]
	v_fma_f64 v[5:6], v[19:20], v[7:8], -v[5:6]
	v_div_fixup_f64 v[21:22], v[23:24], v[21:22], 1.0
	v_mul_f64 v[19:20], v[25:26], v[21:22]
	v_mul_f64 v[21:22], v[21:22], v[5:6]
                                        ; implicit-def: $vgpr7_vgpr8
.LBB8_196:                              ;   in Loop: Header=BB8_6 Depth=1
	s_andn2_saveexec_b32 s60, s60
	s_cbranch_execz .LBB8_198
; %bb.197:                              ;   in Loop: Header=BB8_6 Depth=1
	v_div_scale_f64 v[19:20], null, v[1:2], v[1:2], v[3:4]
	v_div_scale_f64 v[25:26], vcc_lo, v[3:4], v[1:2], v[3:4]
	v_rcp_f64_e32 v[21:22], v[19:20]
	v_fma_f64 v[23:24], -v[19:20], v[21:22], 1.0
	v_fma_f64 v[21:22], v[21:22], v[23:24], v[21:22]
	v_fma_f64 v[23:24], -v[19:20], v[21:22], 1.0
	v_fma_f64 v[21:22], v[21:22], v[23:24], v[21:22]
	v_mul_f64 v[23:24], v[25:26], v[21:22]
	v_fma_f64 v[19:20], -v[19:20], v[23:24], v[25:26]
	v_div_fmas_f64 v[19:20], v[19:20], v[21:22], v[23:24]
	v_div_fixup_f64 v[19:20], v[19:20], v[1:2], v[3:4]
	v_fma_f64 v[21:22], v[3:4], v[19:20], v[1:2]
	v_div_scale_f64 v[23:24], null, v[21:22], v[21:22], 1.0
	v_div_scale_f64 v[29:30], vcc_lo, 1.0, v[21:22], 1.0
	v_rcp_f64_e32 v[25:26], v[23:24]
	v_fma_f64 v[27:28], -v[23:24], v[25:26], 1.0
	v_fma_f64 v[25:26], v[25:26], v[27:28], v[25:26]
	v_fma_f64 v[27:28], -v[23:24], v[25:26], 1.0
	v_fma_f64 v[25:26], v[25:26], v[27:28], v[25:26]
	v_mul_f64 v[27:28], v[29:30], v[25:26]
	v_fma_f64 v[23:24], -v[23:24], v[27:28], v[29:30]
	v_div_fmas_f64 v[23:24], v[23:24], v[25:26], v[27:28]
	s_waitcnt vmcnt(0)
	v_fma_f64 v[25:26], v[19:20], v[7:8], v[5:6]
	v_fma_f64 v[5:6], -v[19:20], v[5:6], v[7:8]
	v_div_fixup_f64 v[21:22], v[23:24], v[21:22], 1.0
	v_mul_f64 v[19:20], v[21:22], v[25:26]
	v_mul_f64 v[21:22], v[5:6], v[21:22]
.LBB8_198:                              ;   in Loop: Header=BB8_6 Depth=1
	s_or_b32 exec_lo, exec_lo, s60
	global_load_dwordx4 v[5:8], v[14:15], off
                                        ; implicit-def: $vgpr23_vgpr24
                                        ; implicit-def: $vgpr25_vgpr26
	s_and_saveexec_b32 s60, s5
	s_xor_b32 s5, exec_lo, s60
	s_cbranch_execz .LBB8_200
; %bb.199:                              ;   in Loop: Header=BB8_6 Depth=1
	v_div_scale_f64 v[23:24], null, v[3:4], v[3:4], v[1:2]
	v_div_scale_f64 v[29:30], vcc_lo, v[1:2], v[3:4], v[1:2]
	v_rcp_f64_e32 v[25:26], v[23:24]
	v_fma_f64 v[27:28], -v[23:24], v[25:26], 1.0
	v_fma_f64 v[25:26], v[25:26], v[27:28], v[25:26]
	v_fma_f64 v[27:28], -v[23:24], v[25:26], 1.0
	v_fma_f64 v[25:26], v[25:26], v[27:28], v[25:26]
	v_mul_f64 v[27:28], v[29:30], v[25:26]
	v_fma_f64 v[23:24], -v[23:24], v[27:28], v[29:30]
	v_div_fmas_f64 v[23:24], v[23:24], v[25:26], v[27:28]
	v_div_fixup_f64 v[23:24], v[23:24], v[3:4], v[1:2]
	v_fma_f64 v[25:26], v[1:2], v[23:24], v[3:4]
	v_div_scale_f64 v[27:28], null, v[25:26], v[25:26], 1.0
	v_div_scale_f64 v[51:52], vcc_lo, 1.0, v[25:26], 1.0
	v_rcp_f64_e32 v[29:30], v[27:28]
	v_fma_f64 v[49:50], -v[27:28], v[29:30], 1.0
	v_fma_f64 v[29:30], v[29:30], v[49:50], v[29:30]
	v_fma_f64 v[49:50], -v[27:28], v[29:30], 1.0
	v_fma_f64 v[29:30], v[29:30], v[49:50], v[29:30]
	v_mul_f64 v[49:50], v[51:52], v[29:30]
	v_fma_f64 v[27:28], -v[27:28], v[49:50], v[51:52]
	v_div_fmas_f64 v[27:28], v[27:28], v[29:30], v[49:50]
	s_waitcnt vmcnt(0)
	v_fma_f64 v[29:30], v[23:24], v[5:6], v[7:8]
	v_fma_f64 v[5:6], v[23:24], v[7:8], -v[5:6]
	v_div_fixup_f64 v[25:26], v[27:28], v[25:26], 1.0
	v_mul_f64 v[23:24], v[25:26], v[29:30]
	v_mul_f64 v[25:26], v[25:26], v[5:6]
                                        ; implicit-def: $vgpr7_vgpr8
.LBB8_200:                              ;   in Loop: Header=BB8_6 Depth=1
	s_andn2_saveexec_b32 s5, s5
	s_cbranch_execz .LBB8_202
; %bb.201:                              ;   in Loop: Header=BB8_6 Depth=1
	v_div_scale_f64 v[23:24], null, v[1:2], v[1:2], v[3:4]
	v_div_scale_f64 v[29:30], vcc_lo, v[3:4], v[1:2], v[3:4]
	v_rcp_f64_e32 v[25:26], v[23:24]
	v_fma_f64 v[27:28], -v[23:24], v[25:26], 1.0
	v_fma_f64 v[25:26], v[25:26], v[27:28], v[25:26]
	v_fma_f64 v[27:28], -v[23:24], v[25:26], 1.0
	v_fma_f64 v[25:26], v[25:26], v[27:28], v[25:26]
	v_mul_f64 v[27:28], v[29:30], v[25:26]
	v_fma_f64 v[23:24], -v[23:24], v[27:28], v[29:30]
	v_div_fmas_f64 v[23:24], v[23:24], v[25:26], v[27:28]
	v_div_fixup_f64 v[23:24], v[23:24], v[1:2], v[3:4]
	v_fma_f64 v[25:26], v[3:4], v[23:24], v[1:2]
	v_div_scale_f64 v[27:28], null, v[25:26], v[25:26], 1.0
	v_div_scale_f64 v[51:52], vcc_lo, 1.0, v[25:26], 1.0
	v_rcp_f64_e32 v[29:30], v[27:28]
	v_fma_f64 v[49:50], -v[27:28], v[29:30], 1.0
	v_fma_f64 v[29:30], v[29:30], v[49:50], v[29:30]
	v_fma_f64 v[49:50], -v[27:28], v[29:30], 1.0
	v_fma_f64 v[29:30], v[29:30], v[49:50], v[29:30]
	v_mul_f64 v[49:50], v[51:52], v[29:30]
	v_fma_f64 v[27:28], -v[27:28], v[49:50], v[51:52]
	v_div_fmas_f64 v[27:28], v[27:28], v[29:30], v[49:50]
	s_waitcnt vmcnt(0)
	v_fma_f64 v[29:30], v[23:24], v[7:8], v[5:6]
	v_fma_f64 v[5:6], -v[23:24], v[5:6], v[7:8]
	v_div_fixup_f64 v[25:26], v[27:28], v[25:26], 1.0
	v_mul_f64 v[23:24], v[25:26], v[29:30]
	v_mul_f64 v[25:26], v[25:26], v[5:6]
.LBB8_202:                              ;   in Loop: Header=BB8_6 Depth=1
	s_or_b32 exec_lo, exec_lo, s5
	s_waitcnt vmcnt(0)
	v_mul_f64 v[5:6], v[21:22], v[25:26]
	v_mul_f64 v[7:8], v[21:22], v[23:24]
	v_fma_f64 v[5:6], v[19:20], v[23:24], -v[5:6]
	v_fma_f64 v[7:8], v[19:20], v[25:26], v[7:8]
	v_add_f64 v[5:6], v[5:6], -1.0
	v_mul_f64 v[27:28], v[3:4], v[7:8]
	v_mul_f64 v[3:4], v[3:4], v[5:6]
	v_fma_f64 v[5:6], v[1:2], v[5:6], -v[27:28]
	v_fma_f64 v[7:8], v[1:2], v[7:8], v[3:4]
                                        ; implicit-def: $vgpr1_vgpr2
                                        ; implicit-def: $vgpr3_vgpr4
	v_cmp_ngt_f64_e64 s5, |v[5:6]|, |v[7:8]|
	s_and_saveexec_b32 s60, s5
	s_xor_b32 s5, exec_lo, s60
	s_cbranch_execz .LBB8_204
; %bb.203:                              ;   in Loop: Header=BB8_6 Depth=1
	v_div_scale_f64 v[1:2], null, v[7:8], v[7:8], v[5:6]
	v_div_scale_f64 v[29:30], vcc_lo, v[5:6], v[7:8], v[5:6]
	v_rcp_f64_e32 v[3:4], v[1:2]
	v_fma_f64 v[27:28], -v[1:2], v[3:4], 1.0
	v_fma_f64 v[3:4], v[3:4], v[27:28], v[3:4]
	v_fma_f64 v[27:28], -v[1:2], v[3:4], 1.0
	v_fma_f64 v[3:4], v[3:4], v[27:28], v[3:4]
	v_mul_f64 v[27:28], v[29:30], v[3:4]
	v_fma_f64 v[1:2], -v[1:2], v[27:28], v[29:30]
	v_div_fmas_f64 v[1:2], v[1:2], v[3:4], v[27:28]
	v_div_fixup_f64 v[1:2], v[1:2], v[7:8], v[5:6]
	v_fma_f64 v[3:4], v[5:6], v[1:2], v[7:8]
	v_div_scale_f64 v[5:6], null, v[3:4], v[3:4], 1.0
	v_div_scale_f64 v[29:30], vcc_lo, 1.0, v[3:4], 1.0
	v_rcp_f64_e32 v[7:8], v[5:6]
	v_fma_f64 v[27:28], -v[5:6], v[7:8], 1.0
	v_fma_f64 v[7:8], v[7:8], v[27:28], v[7:8]
	v_fma_f64 v[27:28], -v[5:6], v[7:8], 1.0
	v_fma_f64 v[7:8], v[7:8], v[27:28], v[7:8]
	v_mul_f64 v[27:28], v[29:30], v[7:8]
	v_fma_f64 v[5:6], -v[5:6], v[27:28], v[29:30]
	v_div_fmas_f64 v[5:6], v[5:6], v[7:8], v[27:28]
	v_add_f64 v[7:8], v[1:2], 0
	v_div_fixup_f64 v[3:4], v[5:6], v[3:4], 1.0
	v_fma_f64 v[5:6], v[1:2], 0, -1.0
	v_mul_f64 v[1:2], v[7:8], v[3:4]
	v_mul_f64 v[3:4], v[5:6], v[3:4]
                                        ; implicit-def: $vgpr5_vgpr6
                                        ; implicit-def: $vgpr7_vgpr8
.LBB8_204:                              ;   in Loop: Header=BB8_6 Depth=1
	s_andn2_saveexec_b32 s5, s5
	s_cbranch_execz .LBB8_206
; %bb.205:                              ;   in Loop: Header=BB8_6 Depth=1
	v_div_scale_f64 v[1:2], null, v[5:6], v[5:6], v[7:8]
	v_div_scale_f64 v[29:30], vcc_lo, v[7:8], v[5:6], v[7:8]
	v_rcp_f64_e32 v[3:4], v[1:2]
	v_fma_f64 v[27:28], -v[1:2], v[3:4], 1.0
	v_fma_f64 v[3:4], v[3:4], v[27:28], v[3:4]
	v_fma_f64 v[27:28], -v[1:2], v[3:4], 1.0
	v_fma_f64 v[3:4], v[3:4], v[27:28], v[3:4]
	v_mul_f64 v[27:28], v[29:30], v[3:4]
	v_fma_f64 v[1:2], -v[1:2], v[27:28], v[29:30]
	v_div_fmas_f64 v[1:2], v[1:2], v[3:4], v[27:28]
	v_div_fixup_f64 v[1:2], v[1:2], v[5:6], v[7:8]
	v_fma_f64 v[3:4], v[7:8], v[1:2], v[5:6]
	v_div_scale_f64 v[5:6], null, v[3:4], v[3:4], 1.0
	v_div_scale_f64 v[29:30], vcc_lo, 1.0, v[3:4], 1.0
	v_rcp_f64_e32 v[7:8], v[5:6]
	v_fma_f64 v[27:28], -v[5:6], v[7:8], 1.0
	v_fma_f64 v[7:8], v[7:8], v[27:28], v[7:8]
	v_fma_f64 v[27:28], -v[5:6], v[7:8], 1.0
	v_fma_f64 v[7:8], v[7:8], v[27:28], v[7:8]
	v_mul_f64 v[27:28], v[29:30], v[7:8]
	v_fma_f64 v[5:6], -v[5:6], v[27:28], v[29:30]
	v_div_fmas_f64 v[5:6], v[5:6], v[7:8], v[27:28]
	v_fma_f64 v[7:8], v[1:2], 0, 1.0
	v_div_fixup_f64 v[3:4], v[5:6], v[3:4], 1.0
	v_add_f64 v[5:6], -v[1:2], 0
	v_mul_f64 v[1:2], v[7:8], v[3:4]
	v_mul_f64 v[3:4], v[5:6], v[3:4]
.LBB8_206:                              ;   in Loop: Header=BB8_6 Depth=1
	s_or_b32 exec_lo, exec_lo, s5
	v_add_nc_u32_e32 v49, v9, v11
	v_cmp_gt_i32_e32 vcc_lo, s22, v49
	s_and_b32 exec_lo, exec_lo, vcc_lo
	s_cbranch_execz .LBB8_209
; %bb.207:                              ;   in Loop: Header=BB8_6 Depth=1
	v_mul_lo_u32 v50, s47, v9
	v_mad_u64_u32 v[5:6], null, s49, v9, v[11:12]
	v_add_nc_u32_e32 v12, v49, v12
	s_mov_b32 s60, 0
	v_lshlrev_b64 v[29:30], 4, v[12:13]
	v_add_nc_u32_e32 v7, v11, v50
	v_ashrrev_i32_e32 v6, 31, v5
	v_ashrrev_i32_e32 v8, 31, v7
	v_lshlrev_b64 v[27:28], 4, v[5:6]
	v_add_nc_u32_e32 v5, v47, v50
	v_lshlrev_b64 v[50:51], 4, v[7:8]
	v_add_co_u32 v7, vcc_lo, s54, v27
	v_add_co_ci_u32_e64 v8, null, s55, v28, vcc_lo
	v_add_co_u32 v27, vcc_lo, s56, v50
	v_add_co_ci_u32_e64 v28, null, s57, v51, vcc_lo
	;; [unrolled: 2-line block ×3, first 2 shown]
.LBB8_208:                              ;   Parent Loop BB8_6 Depth=1
                                        ; =>  This Inner Loop Header: Depth=2
	global_load_dwordx4 v[50:53], v[7:8], off offset:-8
	global_load_dwordx4 v[54:57], v[29:30], off offset:-8
	v_ashrrev_i32_e32 v6, 31, v5
	v_add_nc_u32_e32 v49, 0x100, v49
	v_cmp_le_i32_e32 vcc_lo, s22, v49
	s_or_b32 s60, vcc_lo, s60
	s_waitcnt vmcnt(1)
	v_mul_f64 v[58:59], v[19:20], v[52:53]
	v_mul_f64 v[52:53], v[21:22], v[52:53]
	v_fma_f64 v[58:59], v[21:22], v[50:51], v[58:59]
	v_fma_f64 v[50:51], v[19:20], v[50:51], -v[52:53]
	s_waitcnt vmcnt(0)
	v_add_f64 v[52:53], v[58:59], -v[56:57]
	v_add_f64 v[50:51], v[50:51], -v[54:55]
	v_mul_f64 v[54:55], v[3:4], v[52:53]
	v_mul_f64 v[56:57], v[3:4], v[50:51]
	v_fma_f64 v[50:51], v[1:2], v[50:51], -v[54:55]
	v_fma_f64 v[52:53], v[1:2], v[52:53], v[56:57]
	global_store_dwordx4 v[27:28], v[50:53], off offset:-8
	global_load_dwordx4 v[50:53], v[29:30], off offset:-8
	global_load_dwordx4 v[54:57], v[7:8], off offset:-8
	s_waitcnt vmcnt(1)
	v_mul_f64 v[58:59], v[23:24], v[52:53]
	v_mul_f64 v[52:53], v[25:26], v[52:53]
	v_fma_f64 v[58:59], v[25:26], v[50:51], v[58:59]
	v_fma_f64 v[50:51], v[23:24], v[50:51], -v[52:53]
	s_waitcnt vmcnt(0)
	v_add_f64 v[52:53], v[58:59], -v[56:57]
	v_add_f64 v[50:51], v[50:51], -v[54:55]
	v_lshlrev_b64 v[58:59], 4, v[5:6]
	v_add_nc_u32_e32 v5, 0x100, v5
	v_mul_f64 v[54:55], v[3:4], v[52:53]
	v_mul_f64 v[56:57], v[3:4], v[50:51]
	v_fma_f64 v[50:51], v[1:2], v[50:51], -v[54:55]
	v_fma_f64 v[52:53], v[1:2], v[52:53], v[56:57]
	v_add_co_u32 v54, s5, s20, v58
	v_add_co_ci_u32_e64 v55, null, s33, v59, s5
	v_add_co_u32 v27, s5, 0x1000, v27
	v_add_co_ci_u32_e64 v28, null, 0, v28, s5
	;; [unrolled: 2-line block ×4, first 2 shown]
	global_store_dwordx4 v[54:55], v[50:53], off
	s_andn2_b32 exec_lo, exec_lo, s60
	s_cbranch_execnz .LBB8_208
.LBB8_209:                              ;   in Loop: Header=BB8_6 Depth=1
	s_or_b32 exec_lo, exec_lo, s7
	s_and_saveexec_b32 s5, s0
	s_cbranch_execz .LBB8_211
; %bb.210:                              ;   in Loop: Header=BB8_6 Depth=1
	global_load_dwordx4 v[1:4], v[14:15], off
	v_mul_lo_u32 v5, v9, s21
	v_add_co_u32 v7, vcc_lo, s20, v16
	v_add_co_ci_u32_e64 v8, null, s33, v17, vcc_lo
	v_ashrrev_i32_e32 v6, 31, v5
	v_lshlrev_b64 v[5:6], 4, v[5:6]
	v_add_co_u32 v5, vcc_lo, v7, v5
	v_add_co_ci_u32_e64 v6, null, v8, v6, vcc_lo
	v_mul_lo_u32 v7, v48, s49
	v_ashrrev_i32_e32 v8, 31, v7
	v_lshlrev_b64 v[7:8], 4, v[7:8]
	v_add_co_u32 v7, vcc_lo, s8, v7
	v_add_co_ci_u32_e64 v8, null, s9, v8, vcc_lo
	s_waitcnt vmcnt(0)
	global_store_dwordx4 v[5:6], v[1:4], off
	global_load_dwordx4 v[1:4], v[14:15], off offset:16
	s_waitcnt vmcnt(0)
	global_store_dwordx4 v[5:6], v[1:4], off offset:16
	global_load_dwordx4 v[1:4], v[7:8], off
	v_mul_lo_u32 v5, v48, s47
	v_ashrrev_i32_e32 v6, 31, v5
	v_lshlrev_b64 v[5:6], 4, v[5:6]
	v_add_co_u32 v5, vcc_lo, s20, v5
	v_add_co_ci_u32_e64 v6, null, s33, v6, vcc_lo
	s_waitcnt vmcnt(0)
	global_store_dwordx4 v[5:6], v[1:4], off
.LBB8_211:                              ;   in Loop: Header=BB8_6 Depth=1
	s_or_b32 exec_lo, exec_lo, s5
	s_waitcnt_vscnt null, 0x0
	s_barrier
	buffer_gl0_inv
                                        ; implicit-def: $vgpr14_vgpr15
                                        ; implicit-def: $vgpr5_vgpr6
                                        ; implicit-def: $vgpr26
.LBB8_212:                              ;   in Loop: Header=BB8_6 Depth=1
	s_or_saveexec_b32 s6, s6
	v_mov_b32_e32 v3, 2
	s_mov_b32 s5, 0
	s_mov_b32 s7, 0
	s_xor_b32 exec_lo, exec_lo, s6
	s_cbranch_execz .LBB8_223
; %bb.213:                              ;   in Loop: Header=BB8_6 Depth=1
	global_load_dwordx4 v[1:4], v[14:15], off
                                        ; implicit-def: $vgpr7_vgpr8
                                        ; implicit-def: $vgpr16_vgpr17
	s_waitcnt vmcnt(0)
	v_cmp_ngt_f64_e64 s7, |v[1:2]|, |v[3:4]|
	s_and_saveexec_b32 s60, s7
	s_xor_b32 s7, exec_lo, s60
	s_cbranch_execnz .LBB8_217
; %bb.214:                              ;   in Loop: Header=BB8_6 Depth=1
	s_andn2_saveexec_b32 s7, s7
	s_cbranch_execnz .LBB8_218
.LBB8_215:                              ;   in Loop: Header=BB8_6 Depth=1
	s_or_b32 exec_lo, exec_lo, s7
	s_and_saveexec_b32 s7, s0
	s_cbranch_execnz .LBB8_219
.LBB8_216:                              ;   in Loop: Header=BB8_6 Depth=1
	s_or_b32 exec_lo, exec_lo, s7
	s_and_saveexec_b32 s7, s4
	s_cbranch_execnz .LBB8_220
	s_branch .LBB8_222
.LBB8_217:                              ;   in Loop: Header=BB8_6 Depth=1
	v_div_scale_f64 v[7:8], null, v[3:4], v[3:4], v[1:2]
	v_div_scale_f64 v[21:22], vcc_lo, v[1:2], v[3:4], v[1:2]
	v_rcp_f64_e32 v[16:17], v[7:8]
	v_fma_f64 v[19:20], -v[7:8], v[16:17], 1.0
	v_fma_f64 v[16:17], v[16:17], v[19:20], v[16:17]
	v_fma_f64 v[19:20], -v[7:8], v[16:17], 1.0
	v_fma_f64 v[16:17], v[16:17], v[19:20], v[16:17]
	v_mul_f64 v[19:20], v[21:22], v[16:17]
	v_fma_f64 v[7:8], -v[7:8], v[19:20], v[21:22]
	v_div_fmas_f64 v[7:8], v[7:8], v[16:17], v[19:20]
	v_div_fixup_f64 v[7:8], v[7:8], v[3:4], v[1:2]
	v_fma_f64 v[1:2], v[1:2], v[7:8], v[3:4]
	v_div_scale_f64 v[3:4], null, v[1:2], v[1:2], 1.0
	v_div_scale_f64 v[21:22], vcc_lo, 1.0, v[1:2], 1.0
	v_rcp_f64_e32 v[16:17], v[3:4]
	v_fma_f64 v[19:20], -v[3:4], v[16:17], 1.0
	v_fma_f64 v[16:17], v[16:17], v[19:20], v[16:17]
	v_fma_f64 v[19:20], -v[3:4], v[16:17], 1.0
	v_fma_f64 v[16:17], v[16:17], v[19:20], v[16:17]
	v_mul_f64 v[19:20], v[21:22], v[16:17]
	v_fma_f64 v[3:4], -v[3:4], v[19:20], v[21:22]
	v_div_fmas_f64 v[3:4], v[3:4], v[16:17], v[19:20]
	v_add_f64 v[16:17], v[7:8], 0
	v_div_fixup_f64 v[1:2], v[3:4], v[1:2], 1.0
	v_fma_f64 v[3:4], v[7:8], 0, -1.0
	v_mul_f64 v[7:8], v[16:17], v[1:2]
	v_mul_f64 v[16:17], v[3:4], v[1:2]
                                        ; implicit-def: $vgpr1_vgpr2
	s_andn2_saveexec_b32 s7, s7
	s_cbranch_execz .LBB8_215
.LBB8_218:                              ;   in Loop: Header=BB8_6 Depth=1
	v_div_scale_f64 v[7:8], null, v[1:2], v[1:2], v[3:4]
	v_div_scale_f64 v[21:22], vcc_lo, v[3:4], v[1:2], v[3:4]
	v_rcp_f64_e32 v[16:17], v[7:8]
	v_fma_f64 v[19:20], -v[7:8], v[16:17], 1.0
	v_fma_f64 v[16:17], v[16:17], v[19:20], v[16:17]
	v_fma_f64 v[19:20], -v[7:8], v[16:17], 1.0
	v_fma_f64 v[16:17], v[16:17], v[19:20], v[16:17]
	v_mul_f64 v[19:20], v[21:22], v[16:17]
	v_fma_f64 v[7:8], -v[7:8], v[19:20], v[21:22]
	v_div_fmas_f64 v[7:8], v[7:8], v[16:17], v[19:20]
	v_div_fixup_f64 v[7:8], v[7:8], v[1:2], v[3:4]
	v_fma_f64 v[1:2], v[3:4], v[7:8], v[1:2]
	v_div_scale_f64 v[3:4], null, v[1:2], v[1:2], 1.0
	v_div_scale_f64 v[21:22], vcc_lo, 1.0, v[1:2], 1.0
	v_rcp_f64_e32 v[16:17], v[3:4]
	v_fma_f64 v[19:20], -v[3:4], v[16:17], 1.0
	v_fma_f64 v[16:17], v[16:17], v[19:20], v[16:17]
	v_fma_f64 v[19:20], -v[3:4], v[16:17], 1.0
	v_fma_f64 v[16:17], v[16:17], v[19:20], v[16:17]
	v_mul_f64 v[19:20], v[21:22], v[16:17]
	v_fma_f64 v[3:4], -v[3:4], v[19:20], v[21:22]
	v_div_fmas_f64 v[3:4], v[3:4], v[16:17], v[19:20]
	v_fma_f64 v[16:17], v[7:8], 0, 1.0
	v_div_fixup_f64 v[1:2], v[3:4], v[1:2], 1.0
	v_add_f64 v[3:4], -v[7:8], 0
	v_mul_f64 v[7:8], v[16:17], v[1:2]
	v_mul_f64 v[16:17], v[3:4], v[1:2]
	s_or_b32 exec_lo, exec_lo, s7
	s_and_saveexec_b32 s7, s0
	s_cbranch_execz .LBB8_216
.LBB8_219:                              ;   in Loop: Header=BB8_6 Depth=1
	global_load_dwordx4 v[1:4], v[14:15], off
	v_mul_lo_u32 v14, v9, s47
	v_ashrrev_i32_e32 v15, 31, v14
	v_lshlrev_b64 v[14:15], 4, v[14:15]
	v_add_co_u32 v14, vcc_lo, s20, v14
	v_add_co_ci_u32_e64 v15, null, s33, v15, vcc_lo
	s_waitcnt vmcnt(0)
	global_store_dwordx4 v[14:15], v[1:4], off
	s_or_b32 exec_lo, exec_lo, s7
	s_and_saveexec_b32 s7, s4
	s_cbranch_execz .LBB8_222
.LBB8_220:                              ;   in Loop: Header=BB8_6 Depth=1
	v_mul_lo_u32 v1, v9, s21
	v_mov_b32_e32 v3, v0
	s_mov_b32 s60, 0
	v_ashrrev_i32_e32 v2, 31, v1
	s_inst_prefetch 0x1
	.p2align	6
.LBB8_221:                              ;   Parent Loop BB8_6 Depth=1
                                        ; =>  This Inner Loop Header: Depth=2
	v_add_nc_u32_e32 v4, v9, v3
	v_add_nc_u32_e32 v3, 0x100, v3
	v_add_co_u32 v14, vcc_lo, v4, v5
	v_add_co_ci_u32_e64 v15, null, 0, v6, vcc_lo
	v_lshlrev_b64 v[14:15], 4, v[14:15]
	v_add_co_u32 v14, vcc_lo, s8, v14
	v_add_co_ci_u32_e64 v15, null, s9, v15, vcc_lo
	global_load_dwordx4 v[19:22], v[14:15], off offset:16
	s_waitcnt vmcnt(0)
	v_mul_f64 v[14:15], v[16:17], v[21:22]
	v_mul_f64 v[23:24], v[7:8], v[21:22]
	v_fma_f64 v[21:22], v[7:8], v[19:20], -v[14:15]
	v_fma_f64 v[23:24], v[16:17], v[19:20], v[23:24]
	v_add_co_u32 v14, vcc_lo, v4, v1
	v_add_co_ci_u32_e64 v15, null, 0, v2, vcc_lo
	v_cmp_ge_i32_e32 vcc_lo, v3, v26
	v_lshlrev_b64 v[14:15], 4, v[14:15]
	s_or_b32 s60, vcc_lo, s60
	v_add_co_u32 v14, s4, s20, v14
	v_add_co_ci_u32_e64 v15, null, s33, v15, s4
	global_store_dwordx4 v[14:15], v[21:24], off offset:16
	s_andn2_b32 exec_lo, exec_lo, s60
	s_cbranch_execnz .LBB8_221
.LBB8_222:                              ;   in Loop: Header=BB8_6 Depth=1
	s_inst_prefetch 0x2
	s_or_b32 exec_lo, exec_lo, s7
	v_mov_b32_e32 v3, 1
	s_mov_b32 s7, exec_lo
	s_waitcnt_vscnt null, 0x0
	s_barrier
	buffer_gl0_inv
.LBB8_223:                              ;   in Loop: Header=BB8_6 Depth=1
	s_or_b32 exec_lo, exec_lo, s6
	s_and_b32 vcc_lo, exec_lo, s5
	s_cbranch_vccz .LBB8_227
.LBB8_224:                              ;   in Loop: Header=BB8_6 Depth=1
	ds_read_b32 v1, v13 offset:3100
	s_waitcnt lgkmcnt(0)
	v_readfirstlane_b32 s4, v1
	s_cmp_eq_u32 s4, 0
	s_cselect_b32 s4, -1, 0
	s_and_b32 s5, s0, s4
	s_and_saveexec_b32 s4, s5
; %bb.225:                              ;   in Loop: Header=BB8_6 Depth=1
	ds_write_b32 v13, v48 offset:3100
; %bb.226:                              ;   in Loop: Header=BB8_6 Depth=1
	s_or_b32 exec_lo, exec_lo, s4
	v_mov_b32_e32 v3, 1
	v_mov_b32_e32 v18, v9
	s_mov_b32 s7, -1
.LBB8_227:                              ;   in Loop: Header=BB8_6 Depth=1
	s_and_saveexec_b32 s4, s0
	s_cbranch_execz .LBB8_4
; %bb.228:                              ;   in Loop: Header=BB8_6 Depth=1
	v_lshlrev_b64 v[1:2], 2, v[9:10]
	s_xor_b32 s5, s7, -1
	v_add_co_u32 v1, vcc_lo, s42, v1
	v_add_co_ci_u32_e64 v2, null, s43, v2, vcc_lo
	s_and_saveexec_b32 s6, s5
	s_xor_b32 s5, exec_lo, s6
	s_cbranch_execz .LBB8_230
; %bb.229:                              ;   in Loop: Header=BB8_6 Depth=1
	v_not_b32_e32 v4, v18
                                        ; implicit-def: $vgpr18
	v_mov_b32_e32 v5, v4
	global_store_dwordx2 v[1:2], v[4:5], off
                                        ; implicit-def: $vgpr1_vgpr2
.LBB8_230:                              ;   in Loop: Header=BB8_6 Depth=1
	s_andn2_saveexec_b32 s5, s5
	s_cbranch_execz .LBB8_4
; %bb.231:                              ;   in Loop: Header=BB8_6 Depth=1
	v_add_nc_u32_e32 v4, 1, v18
	global_store_dword v[1:2], v4, off
	s_branch .LBB8_4
.LBB8_232:
	s_or_b32 exec_lo, exec_lo, s11
	s_and_saveexec_b32 s1, s0
	s_cbranch_execz .LBB8_234
.LBB8_233:
	v_mov_b32_e32 v1, 0
	s_lshl_b64 s[2:3], s[26:27], 2
	s_add_u32 s4, s16, s2
	s_addc_u32 s5, s17, s3
	ds_read_b32 v2, v1 offset:3100
	s_add_u32 s2, s14, s2
	s_addc_u32 s3, s15, s3
	global_store_dword v1, v9, s[4:5]
	s_waitcnt lgkmcnt(0)
	global_store_dword v1, v2, s[2:3]
.LBB8_234:
	s_or_b32 exec_lo, exec_lo, s1
	s_mov_b32 s10, exec_lo
	v_cmpx_gt_i32_e64 s22, v9
	s_cbranch_execz .LBB8_255
; %bb.235:
	v_ashrrev_i32_e32 v10, 31, v9
	s_add_u32 s0, s30, s34
	s_addc_u32 s1, s31, s35
	s_mov_b32 s2, s23
	s_mov_b32 s4, s21
	v_lshlrev_b64 v[3:4], 4, v[9:10]
	s_ashr_i32 s3, s23, 31
	s_ashr_i32 s5, s21, 31
	s_lshl_b64 s[2:3], s[2:3], 4
	s_lshl_b64 s[4:5], s[4:5], 4
	v_mov_b32_e32 v2, 0
	v_add_co_u32 v1, s0, s0, v3
	v_add_co_ci_u32_e64 v5, null, s1, v4, s0
	s_mov_b32 s11, 0
	v_add_co_u32 v1, s0, v1, v33
	v_add_co_ci_u32_e64 v5, null, 0, v5, s0
	v_cmp_ne_u32_e32 vcc_lo, 0, v9
	v_add_co_u32 v1, s0, s18, v1
	v_add_co_ci_u32_e64 v5, null, s19, v5, s0
	s_add_u32 s0, s24, s28
	s_addc_u32 s1, s25, s29
	v_add_co_u32 v6, s0, s0, v3
	v_add_co_ci_u32_e64 v7, null, s1, v4, s0
	v_add_co_u32 v3, s0, v1, 8
	v_add_co_ci_u32_e64 v4, null, 0, v5, s0
	;; [unrolled: 2-line block ×3, first 2 shown]
	v_mov_b32_e32 v7, v9
	s_ashr_i32 s1, s22, 31
	s_mov_b32 s0, s22
	s_lshl_b64 s[6:7], s[0:1], 4
	s_branch .LBB8_237
.LBB8_236:                              ;   in Loop: Header=BB8_237 Depth=1
	s_or_b32 exec_lo, exec_lo, s1
	v_add_nc_u32_e32 v7, s23, v7
	v_add_co_u32 v3, s0, v3, s2
	v_add_co_ci_u32_e64 v4, null, s3, v4, s0
	v_cmp_le_i32_e64 s0, s22, v7
	v_add_co_u32 v5, s1, v5, s2
	v_add_co_ci_u32_e64 v6, null, s3, v6, s1
	s_or_b32 s11, s0, s11
	s_andn2_b32 exec_lo, exec_lo, s11
	s_cbranch_execz .LBB8_255
.LBB8_237:                              ; =>This Loop Header: Depth=1
                                        ;     Child Loop BB8_240 Depth 2
                                        ;       Child Loop BB8_243 Depth 3
                                        ;         Child Loop BB8_245 Depth 4
                                        ;     Child Loop BB8_251 Depth 2
                                        ;       Child Loop BB8_253 Depth 3
	v_sub_nc_u32_e32 v8, s22, v7
	s_mov_b32 s12, exec_lo
	v_min_i32_e32 v26, s23, v8
	v_add_nc_u32_e32 v10, v26, v7
	v_cmpx_lt_i32_e32 0, v26
	s_cbranch_execz .LBB8_247
; %bb.238:                              ;   in Loop: Header=BB8_237 Depth=1
	v_mov_b32_e32 v12, v6
	v_mov_b32_e32 v14, v4
	;; [unrolled: 1-line block ×5, first 2 shown]
	s_mov_b32 s13, 0
	s_branch .LBB8_240
.LBB8_239:                              ;   in Loop: Header=BB8_240 Depth=2
	s_or_b32 exec_lo, exec_lo, s14
	v_add_nc_u32_e32 v15, 1, v15
	v_add_co_u32 v13, s0, v13, 16
	v_add_co_ci_u32_e64 v14, null, 0, v14, s0
	v_cmp_ge_i32_e64 s0, v15, v10
	v_add_co_u32 v11, s1, v11, 16
	v_add_co_ci_u32_e64 v12, null, 0, v12, s1
	s_or_b32 s13, s0, s13
	s_andn2_b32 exec_lo, exec_lo, s13
	s_cbranch_execz .LBB8_247
.LBB8_240:                              ;   Parent Loop BB8_237 Depth=1
                                        ; =>  This Loop Header: Depth=2
                                        ;       Child Loop BB8_243 Depth 3
                                        ;         Child Loop BB8_245 Depth 4
	v_sub_nc_u32_e32 v27, v10, v15
	s_mov_b32 s14, exec_lo
	v_cmpx_lt_i32_e64 v0, v27
	s_cbranch_execz .LBB8_239
; %bb.241:                              ;   in Loop: Header=BB8_240 Depth=2
	v_mul_lo_u32 v17, v15, s21
	v_ashrrev_i32_e32 v16, 31, v15
	s_mov_b32 s15, 0
	v_lshlrev_b64 v[19:20], 4, v[15:16]
	v_ashrrev_i32_e32 v18, 31, v17
	v_add_co_u32 v1, s0, s20, v19
	v_lshlrev_b64 v[21:22], 4, v[17:18]
	v_add_co_ci_u32_e64 v18, null, s33, v20, s0
	v_mov_b32_e32 v17, v14
	v_mov_b32_e32 v16, v13
	v_add_co_u32 v28, s0, v1, v21
	v_add_co_ci_u32_e64 v29, null, v18, v22, s0
	v_mov_b32_e32 v1, v0
	s_branch .LBB8_243
.LBB8_242:                              ;   in Loop: Header=BB8_243 Depth=3
	s_or_b32 exec_lo, exec_lo, s16
	v_lshlrev_b64 v[22:23], 4, v[1:2]
	v_fma_f64 v[35:36], 0x80000000, v[18:19], -v[20:21]
	v_fma_f64 v[20:21], v[20:21], 0, -v[18:19]
	v_add_nc_u32_e32 v1, 0x100, v1
	v_add_co_u32 v16, s1, 0x1000, v16
	v_add_co_u32 v33, s0, v28, v22
	v_add_co_ci_u32_e64 v34, null, v29, v23, s0
	v_cmp_ge_i32_e64 s0, v1, v27
	v_add_co_ci_u32_e64 v17, null, 0, v17, s1
	global_load_dwordx4 v[22:25], v[33:34], off
	s_or_b32 s15, s0, s15
	s_waitcnt vmcnt(0)
	v_fma_f64 v[18:19], 0x80000000, v[24:25], v[22:23]
	v_fma_f64 v[22:23], v[22:23], 0, v[24:25]
	v_add_f64 v[18:19], v[35:36], v[18:19]
	v_add_f64 v[20:21], v[20:21], v[22:23]
	global_store_dwordx4 v[33:34], v[18:21], off
	s_andn2_b32 exec_lo, exec_lo, s15
	s_cbranch_execz .LBB8_239
.LBB8_243:                              ;   Parent Loop BB8_237 Depth=1
                                        ;     Parent Loop BB8_240 Depth=2
                                        ; =>    This Loop Header: Depth=3
                                        ;         Child Loop BB8_245 Depth 4
	v_mov_b32_e32 v18, 0
	v_mov_b32_e32 v20, 0
	;; [unrolled: 1-line block ×4, first 2 shown]
	s_and_saveexec_b32 s16, vcc_lo
	s_cbranch_execz .LBB8_242
; %bb.244:                              ;   in Loop: Header=BB8_243 Depth=3
	v_mov_b32_e32 v18, 0
	v_mov_b32_e32 v23, v12
	;; [unrolled: 1-line block ×9, first 2 shown]
	s_mov_b32 s17, 0
	.p2align	6
.LBB8_245:                              ;   Parent Loop BB8_237 Depth=1
                                        ;     Parent Loop BB8_240 Depth=2
                                        ;       Parent Loop BB8_243 Depth=3
                                        ; =>      This Inner Loop Header: Depth=4
	global_load_dwordx4 v[33:36], v[22:23], off offset:-8
	global_load_dwordx4 v[37:40], v[24:25], off offset:-8
	v_add_nc_u32_e32 v30, -1, v30
	v_add_co_u32 v24, s0, v24, s4
	v_add_co_ci_u32_e64 v25, null, s5, v25, s0
	v_cmp_eq_u32_e64 s0, 0, v30
	v_add_co_u32 v22, s1, v22, s6
	v_add_co_ci_u32_e64 v23, null, s7, v23, s1
	s_or_b32 s17, s0, s17
	s_waitcnt vmcnt(0)
	v_mul_f64 v[41:42], v[35:36], v[39:40]
	v_mul_f64 v[39:40], v[33:34], v[39:40]
	v_fma_f64 v[33:34], v[33:34], v[37:38], -v[41:42]
	v_fma_f64 v[35:36], v[35:36], v[37:38], v[39:40]
	v_add_f64 v[20:21], v[20:21], v[33:34]
	v_add_f64 v[18:19], v[18:19], v[35:36]
	s_andn2_b32 exec_lo, exec_lo, s17
	s_cbranch_execnz .LBB8_245
; %bb.246:                              ;   in Loop: Header=BB8_243 Depth=3
	s_or_b32 exec_lo, exec_lo, s17
	s_branch .LBB8_242
.LBB8_247:                              ;   in Loop: Header=BB8_237 Depth=1
	s_or_b32 exec_lo, exec_lo, s12
	s_mov_b32 s1, exec_lo
	v_cmpx_gt_i32_e64 s22, v10
	s_cbranch_execz .LBB8_236
; %bb.248:                              ;   in Loop: Header=BB8_237 Depth=1
	v_sub_nc_u32_e32 v18, v8, v26
	v_mul_lo_u32 v19, v18, v26
	v_cmp_lt_i32_e64 s0, v0, v19
	s_and_b32 exec_lo, exec_lo, s0
	s_cbranch_execz .LBB8_236
; %bb.249:                              ;   in Loop: Header=BB8_237 Depth=1
	v_sub_nc_u32_e32 v1, 0, v18
	v_ashrrev_i32_e32 v11, 31, v10
	v_mul_lo_u32 v12, v7, s21
	v_ashrrev_i32_e32 v8, 31, v7
	v_ashrrev_i32_e32 v21, 31, v18
	v_max_i32_e32 v20, v18, v1
	v_lshlrev_b64 v[10:11], 4, v[10:11]
	v_mov_b32_e32 v28, v0
	v_lshlrev_b64 v[14:15], 4, v[7:8]
	s_mov_b32 s12, 0
	v_cvt_f32_u32_e32 v1, v20
	v_sub_nc_u32_e32 v13, 0, v20
	v_add_co_u32 v8, s0, s20, v10
	v_add_co_ci_u32_e64 v22, null, s33, v11, s0
	v_rcp_iflag_f32_e32 v1, v1
	v_add_co_u32 v23, s0, s8, v14
	v_add_co_ci_u32_e64 v24, null, s9, v15, s0
	v_mul_f32_e32 v1, 0x4f7ffffe, v1
	v_cvt_u32_f32_e32 v1, v1
	v_mul_lo_u32 v16, v13, v1
	v_ashrrev_i32_e32 v13, 31, v12
	v_lshlrev_b64 v[10:11], 4, v[12:13]
	v_mul_hi_u32 v12, v1, v16
	v_add_co_u32 v25, s0, v8, v10
	v_add_co_ci_u32_e64 v26, null, v22, v11, s0
	v_add_nc_u32_e32 v27, v1, v12
	s_branch .LBB8_251
.LBB8_250:                              ;   in Loop: Header=BB8_251 Depth=2
	s_or_b32 exec_lo, exec_lo, s13
	v_mad_u64_u32 v[14:15], null, v29, s21, v[1:2]
	v_fma_f64 v[33:34], 0x80000000, v[10:11], -v[12:13]
	v_fma_f64 v[12:13], v[12:13], 0, -v[10:11]
	v_add_nc_u32_e32 v28, 0x100, v28
	v_ashrrev_i32_e32 v15, 31, v14
	v_lshlrev_b64 v[14:15], 4, v[14:15]
	v_add_co_u32 v29, s0, v25, v14
	v_add_co_ci_u32_e64 v30, null, v26, v15, s0
	v_cmp_ge_i32_e64 s0, v28, v19
	global_load_dwordx4 v[14:17], v[29:30], off
	s_or_b32 s12, s0, s12
	s_waitcnt vmcnt(0)
	v_fma_f64 v[10:11], 0x80000000, v[16:17], v[14:15]
	v_fma_f64 v[14:15], v[14:15], 0, v[16:17]
	v_add_f64 v[10:11], v[33:34], v[10:11]
	v_add_f64 v[12:13], v[12:13], v[14:15]
	global_store_dwordx4 v[29:30], v[10:13], off
	s_andn2_b32 exec_lo, exec_lo, s12
	s_cbranch_execz .LBB8_236
.LBB8_251:                              ;   Parent Loop BB8_237 Depth=1
                                        ; =>  This Loop Header: Depth=2
                                        ;       Child Loop BB8_253 Depth 3
	v_mul_hi_u32 v1, v28, v27
	v_mul_lo_u32 v10, v1, v20
	v_add_nc_u32_e32 v11, 1, v1
	v_sub_nc_u32_e32 v10, v28, v10
	v_sub_nc_u32_e32 v12, v10, v20
	v_cmp_ge_u32_e64 s0, v10, v20
	v_cndmask_b32_e64 v1, v1, v11, s0
	v_cndmask_b32_e64 v10, v10, v12, s0
	v_mov_b32_e32 v12, 0
	v_mov_b32_e32 v13, 0
	v_add_nc_u32_e32 v11, 1, v1
	v_cmp_ge_u32_e64 s0, v10, v20
	v_cndmask_b32_e64 v1, v1, v11, s0
	v_mov_b32_e32 v10, 0
	v_mov_b32_e32 v11, 0
	v_xor_b32_e32 v1, v1, v21
	v_sub_nc_u32_e32 v29, v1, v21
	v_mul_lo_u32 v1, v29, v18
	v_sub_nc_u32_e32 v1, v28, v1
	s_and_saveexec_b32 s13, vcc_lo
	s_cbranch_execz .LBB8_250
; %bb.252:                              ;   in Loop: Header=BB8_251 Depth=2
	v_mov_b32_e32 v10, 0
	v_mov_b32_e32 v12, 0
	v_mov_b32_e32 v11, 0
	v_mov_b32_e32 v14, v1
	v_mov_b32_e32 v16, v29
	v_mov_b32_e32 v13, 0
	v_mov_b32_e32 v30, v9
	s_mov_b32 s14, 0
	s_inst_prefetch 0x1
	.p2align	6
.LBB8_253:                              ;   Parent Loop BB8_237 Depth=1
                                        ;     Parent Loop BB8_251 Depth=2
                                        ; =>    This Inner Loop Header: Depth=3
	v_ashrrev_i32_e32 v17, 31, v16
	v_ashrrev_i32_e32 v15, 31, v14
	v_add_nc_u32_e32 v30, -1, v30
	v_lshlrev_b64 v[33:34], 4, v[16:17]
	v_lshlrev_b64 v[35:36], 4, v[14:15]
	v_add_nc_u32_e32 v16, s22, v16
	v_add_nc_u32_e32 v14, s21, v14
	v_add_co_u32 v33, s0, v23, v33
	v_add_co_ci_u32_e64 v34, null, v24, v34, s0
	v_add_co_u32 v37, s0, v8, v35
	v_add_co_ci_u32_e64 v38, null, v22, v36, s0
	global_load_dwordx4 v[33:36], v[33:34], off
	global_load_dwordx4 v[37:40], v[37:38], off
	v_cmp_eq_u32_e64 s0, 0, v30
	s_or_b32 s14, s0, s14
	s_waitcnt vmcnt(0)
	v_mul_f64 v[41:42], v[35:36], v[39:40]
	v_mul_f64 v[39:40], v[33:34], v[39:40]
	v_fma_f64 v[33:34], v[33:34], v[37:38], -v[41:42]
	v_fma_f64 v[35:36], v[35:36], v[37:38], v[39:40]
	v_add_f64 v[12:13], v[12:13], v[33:34]
	v_add_f64 v[10:11], v[10:11], v[35:36]
	s_andn2_b32 exec_lo, exec_lo, s14
	s_cbranch_execnz .LBB8_253
; %bb.254:                              ;   in Loop: Header=BB8_251 Depth=2
	s_inst_prefetch 0x2
	s_or_b32 exec_lo, exec_lo, s14
	s_branch .LBB8_250
.LBB8_255:
	s_or_b32 exec_lo, exec_lo, s10
	s_waitcnt lgkmcnt(0)
	s_waitcnt_vscnt null, 0x0
	s_barrier
	buffer_gl0_inv
	s_mov_b32 s0, exec_lo
	v_cmpx_lt_i32_e32 1, v9
	s_cbranch_execz .LBB8_263
; %bb.256:
	v_lshl_add_u32 v3, v32, 4, 0x2c20
	v_mov_b32_e32 v2, 0
	s_lshl_b32 s1, s21, 8
	s_mov_b32 s2, 0
	s_branch .LBB8_259
.LBB8_257:                              ;   in Loop: Header=BB8_259 Depth=1
	s_inst_prefetch 0x2
	s_waitcnt lgkmcnt(0)
	s_waitcnt_vscnt null, 0x0
	s_barrier
	buffer_gl0_inv
.LBB8_258:                              ;   in Loop: Header=BB8_259 Depth=1
	s_or_b32 exec_lo, exec_lo, s0
	v_cmp_gt_u32_e32 vcc_lo, 2, v4
	v_mov_b32_e32 v9, v4
	s_or_b32 s2, vcc_lo, s2
	s_andn2_b32 exec_lo, exec_lo, s2
	s_cbranch_execz .LBB8_263
.LBB8_259:                              ; =>This Loop Header: Depth=1
                                        ;     Child Loop BB8_262 Depth 2
	v_add_nc_u32_e32 v1, -1, v9
	v_add_nc_u32_e32 v6, -2, v9
	v_lshlrev_b64 v[4:5], 2, v[1:2]
	v_add_co_u32 v4, vcc_lo, s42, v4
	v_add_co_ci_u32_e64 v5, null, s43, v5, vcc_lo
	global_load_dword v4, v[4:5], off
	s_waitcnt vmcnt(0)
	v_not_b32_e32 v5, v4
	v_add_nc_u32_e32 v7, -1, v4
	v_cmp_gt_i32_e32 vcc_lo, 0, v4
	v_cndmask_b32_e32 v5, v7, v5, vcc_lo
	v_cndmask_b32_e32 v4, v1, v6, vcc_lo
	v_cmp_ne_u32_e32 vcc_lo, v5, v1
	v_cmp_ne_u32_e64 s0, 0, v4
	s_and_b32 s3, vcc_lo, s0
	s_and_saveexec_b32 s0, s3
	s_cbranch_execz .LBB8_258
; %bb.260:                              ;   in Loop: Header=BB8_259 Depth=1
	v_cmp_lt_i32_e32 vcc_lo, v0, v4
	s_and_b32 exec_lo, exec_lo, vcc_lo
	s_cbranch_execz .LBB8_257
; %bb.261:                              ;   in Loop: Header=BB8_259 Depth=1
	v_ashrrev_i32_e32 v1, 31, v9
	v_mov_b32_e32 v6, v31
	v_mov_b32_e32 v7, v0
	s_mov_b32 s3, 0
	s_inst_prefetch 0x1
	.p2align	6
.LBB8_262:                              ;   Parent Loop BB8_259 Depth=1
                                        ; =>  This Inner Loop Header: Depth=2
	v_add_nc_u32_e32 v10, v5, v6
	v_ashrrev_i32_e32 v8, 31, v6
	v_add_co_u32 v12, vcc_lo, v6, v9
	v_add_nc_u32_e32 v7, 0x100, v7
	v_ashrrev_i32_e32 v11, 31, v10
	v_add_co_ci_u32_e64 v13, null, v8, v1, vcc_lo
	v_add_nc_u32_e32 v6, s1, v6
	v_lshlrev_b64 v[10:11], 4, v[10:11]
	v_lshlrev_b64 v[12:13], 4, v[12:13]
	v_add_co_u32 v18, vcc_lo, s20, v10
	v_add_co_ci_u32_e64 v19, null, s33, v11, vcc_lo
	v_add_co_u32 v20, vcc_lo, s20, v12
	v_add_co_ci_u32_e64 v21, null, s33, v13, vcc_lo
	s_clause 0x1
	global_load_dwordx4 v[10:13], v[18:19], off
	global_load_dwordx4 v[14:17], v[20:21], off offset:-16
	v_cmp_ge_i32_e32 vcc_lo, v7, v4
	s_or_b32 s3, vcc_lo, s3
	s_waitcnt vmcnt(1)
	ds_write2_b64 v3, v[10:11], v[12:13] offset1:1
	s_waitcnt vmcnt(0)
	global_store_dwordx4 v[18:19], v[14:17], off
	global_store_dwordx4 v[20:21], v[10:13], off offset:-16
	s_andn2_b32 exec_lo, exec_lo, s3
	s_cbranch_execnz .LBB8_262
	s_branch .LBB8_257
.LBB8_263:
	s_endpgm
.LBB8_264:
	v_mov_b32_e32 v9, 0
	s_and_saveexec_b32 s1, s0
	s_cbranch_execnz .LBB8_233
	s_branch .LBB8_234
	.section	.rodata,"a",@progbits
	.p2align	6, 0x0
	.amdhsa_kernel _ZN9rocsolver6v33100L18lasyf_kernel_lowerI19rocblas_complex_numIdEPS3_EEviiPiT0_iilS5_lS5_PT_
		.amdhsa_group_segment_fixed_size 15392
		.amdhsa_private_segment_fixed_size 0
		.amdhsa_kernarg_size 72
		.amdhsa_user_sgpr_count 8
		.amdhsa_user_sgpr_private_segment_buffer 1
		.amdhsa_user_sgpr_dispatch_ptr 1
		.amdhsa_user_sgpr_queue_ptr 0
		.amdhsa_user_sgpr_kernarg_segment_ptr 1
		.amdhsa_user_sgpr_dispatch_id 0
		.amdhsa_user_sgpr_flat_scratch_init 0
		.amdhsa_user_sgpr_private_segment_size 0
		.amdhsa_wavefront_size32 1
		.amdhsa_uses_dynamic_stack 0
		.amdhsa_system_sgpr_private_segment_wavefront_offset 0
		.amdhsa_system_sgpr_workgroup_id_x 1
		.amdhsa_system_sgpr_workgroup_id_y 1
		.amdhsa_system_sgpr_workgroup_id_z 0
		.amdhsa_system_sgpr_workgroup_info 0
		.amdhsa_system_vgpr_workitem_id 2
		.amdhsa_next_free_vgpr 61
		.amdhsa_next_free_sgpr 64
		.amdhsa_reserve_vcc 1
		.amdhsa_reserve_flat_scratch 0
		.amdhsa_float_round_mode_32 0
		.amdhsa_float_round_mode_16_64 0
		.amdhsa_float_denorm_mode_32 3
		.amdhsa_float_denorm_mode_16_64 3
		.amdhsa_dx10_clamp 1
		.amdhsa_ieee_mode 1
		.amdhsa_fp16_overflow 0
		.amdhsa_workgroup_processor_mode 1
		.amdhsa_memory_ordered 1
		.amdhsa_forward_progress 1
		.amdhsa_shared_vgpr_count 0
		.amdhsa_exception_fp_ieee_invalid_op 0
		.amdhsa_exception_fp_denorm_src 0
		.amdhsa_exception_fp_ieee_div_zero 0
		.amdhsa_exception_fp_ieee_overflow 0
		.amdhsa_exception_fp_ieee_underflow 0
		.amdhsa_exception_fp_ieee_inexact 0
		.amdhsa_exception_int_div_zero 0
	.end_amdhsa_kernel
	.section	.text._ZN9rocsolver6v33100L18lasyf_kernel_lowerI19rocblas_complex_numIdEPS3_EEviiPiT0_iilS5_lS5_PT_,"axG",@progbits,_ZN9rocsolver6v33100L18lasyf_kernel_lowerI19rocblas_complex_numIdEPS3_EEviiPiT0_iilS5_lS5_PT_,comdat
.Lfunc_end8:
	.size	_ZN9rocsolver6v33100L18lasyf_kernel_lowerI19rocblas_complex_numIdEPS3_EEviiPiT0_iilS5_lS5_PT_, .Lfunc_end8-_ZN9rocsolver6v33100L18lasyf_kernel_lowerI19rocblas_complex_numIdEPS3_EEviiPiT0_iilS5_lS5_PT_
                                        ; -- End function
	.set _ZN9rocsolver6v33100L18lasyf_kernel_lowerI19rocblas_complex_numIdEPS3_EEviiPiT0_iilS5_lS5_PT_.num_vgpr, 61
	.set _ZN9rocsolver6v33100L18lasyf_kernel_lowerI19rocblas_complex_numIdEPS3_EEviiPiT0_iilS5_lS5_PT_.num_agpr, 0
	.set _ZN9rocsolver6v33100L18lasyf_kernel_lowerI19rocblas_complex_numIdEPS3_EEviiPiT0_iilS5_lS5_PT_.numbered_sgpr, 64
	.set _ZN9rocsolver6v33100L18lasyf_kernel_lowerI19rocblas_complex_numIdEPS3_EEviiPiT0_iilS5_lS5_PT_.num_named_barrier, 0
	.set _ZN9rocsolver6v33100L18lasyf_kernel_lowerI19rocblas_complex_numIdEPS3_EEviiPiT0_iilS5_lS5_PT_.private_seg_size, 0
	.set _ZN9rocsolver6v33100L18lasyf_kernel_lowerI19rocblas_complex_numIdEPS3_EEviiPiT0_iilS5_lS5_PT_.uses_vcc, 1
	.set _ZN9rocsolver6v33100L18lasyf_kernel_lowerI19rocblas_complex_numIdEPS3_EEviiPiT0_iilS5_lS5_PT_.uses_flat_scratch, 0
	.set _ZN9rocsolver6v33100L18lasyf_kernel_lowerI19rocblas_complex_numIdEPS3_EEviiPiT0_iilS5_lS5_PT_.has_dyn_sized_stack, 0
	.set _ZN9rocsolver6v33100L18lasyf_kernel_lowerI19rocblas_complex_numIdEPS3_EEviiPiT0_iilS5_lS5_PT_.has_recursion, 0
	.set _ZN9rocsolver6v33100L18lasyf_kernel_lowerI19rocblas_complex_numIdEPS3_EEviiPiT0_iilS5_lS5_PT_.has_indirect_call, 0
	.section	.AMDGPU.csdata,"",@progbits
; Kernel info:
; codeLenInByte = 13492
; TotalNumSgprs: 66
; NumVgprs: 61
; ScratchSize: 0
; MemoryBound: 0
; FloatMode: 240
; IeeeMode: 1
; LDSByteSize: 15392 bytes/workgroup (compile time only)
; SGPRBlocks: 0
; VGPRBlocks: 7
; NumSGPRsForWavesPerEU: 66
; NumVGPRsForWavesPerEU: 61
; Occupancy: 16
; WaveLimiterHint : 1
; COMPUTE_PGM_RSRC2:SCRATCH_EN: 0
; COMPUTE_PGM_RSRC2:USER_SGPR: 8
; COMPUTE_PGM_RSRC2:TRAP_HANDLER: 0
; COMPUTE_PGM_RSRC2:TGID_X_EN: 1
; COMPUTE_PGM_RSRC2:TGID_Y_EN: 1
; COMPUTE_PGM_RSRC2:TGID_Z_EN: 0
; COMPUTE_PGM_RSRC2:TIDIG_COMP_CNT: 2
	.section	.AMDGPU.gpr_maximums,"",@progbits
	.set amdgpu.max_num_vgpr, 0
	.set amdgpu.max_num_agpr, 0
	.set amdgpu.max_num_sgpr, 0
	.section	.AMDGPU.csdata,"",@progbits
	.type	__hip_cuid_d6c44463f89405dc,@object ; @__hip_cuid_d6c44463f89405dc
	.section	.bss,"aw",@nobits
	.globl	__hip_cuid_d6c44463f89405dc
__hip_cuid_d6c44463f89405dc:
	.byte	0                               ; 0x0
	.size	__hip_cuid_d6c44463f89405dc, 1

	.ident	"AMD clang version 22.0.0git (https://github.com/RadeonOpenCompute/llvm-project roc-7.2.4 26084 f58b06dce1f9c15707c5f808fd002e18c2accf7e)"
	.section	".note.GNU-stack","",@progbits
	.addrsig
	.addrsig_sym __hip_cuid_d6c44463f89405dc
	.amdgpu_metadata
---
amdhsa.kernels:
  - .args:
      - .address_space:  global
        .offset:         0
        .size:           8
        .value_kind:     global_buffer
      - .offset:         8
        .size:           4
        .value_kind:     by_value
      - .offset:         12
        .size:           4
        .value_kind:     by_value
      - .offset:         16
        .size:           4
        .value_kind:     by_value
      - .offset:         24
        .size:           4
        .value_kind:     hidden_block_count_x
      - .offset:         28
        .size:           4
        .value_kind:     hidden_block_count_y
      - .offset:         32
        .size:           4
        .value_kind:     hidden_block_count_z
      - .offset:         36
        .size:           2
        .value_kind:     hidden_group_size_x
      - .offset:         38
        .size:           2
        .value_kind:     hidden_group_size_y
      - .offset:         40
        .size:           2
        .value_kind:     hidden_group_size_z
      - .offset:         42
        .size:           2
        .value_kind:     hidden_remainder_x
      - .offset:         44
        .size:           2
        .value_kind:     hidden_remainder_y
      - .offset:         46
        .size:           2
        .value_kind:     hidden_remainder_z
      - .offset:         64
        .size:           8
        .value_kind:     hidden_global_offset_x
      - .offset:         72
        .size:           8
        .value_kind:     hidden_global_offset_y
      - .offset:         80
        .size:           8
        .value_kind:     hidden_global_offset_z
      - .offset:         88
        .size:           2
        .value_kind:     hidden_grid_dims
    .group_segment_fixed_size: 0
    .kernarg_segment_align: 8
    .kernarg_segment_size: 280
    .language:       OpenCL C
    .language_version:
      - 2
      - 0
    .max_flat_workgroup_size: 1024
    .name:           _ZN9rocsolver6v33100L10reset_infoIiiiEEvPT_T0_T1_S4_
    .private_segment_fixed_size: 0
    .sgpr_count:     10
    .sgpr_spill_count: 0
    .symbol:         _ZN9rocsolver6v33100L10reset_infoIiiiEEvPT_T0_T1_S4_.kd
    .uniform_work_group_size: 1
    .uses_dynamic_stack: false
    .vgpr_count:     5
    .vgpr_spill_count: 0
    .wavefront_size: 32
    .workgroup_processor_mode: 1
  - .args:
      - .offset:         0
        .size:           4
        .value_kind:     by_value
      - .offset:         4
        .size:           4
        .value_kind:     by_value
      - .address_space:  global
        .offset:         8
        .size:           8
        .value_kind:     global_buffer
      - .address_space:  global
        .offset:         16
        .size:           8
        .value_kind:     global_buffer
      - .offset:         24
        .size:           4
        .value_kind:     by_value
      - .offset:         28
        .size:           4
        .value_kind:     by_value
      - .offset:         32
        .size:           8
        .value_kind:     by_value
      - .address_space:  global
        .offset:         40
        .size:           8
        .value_kind:     global_buffer
      - .offset:         48
        .size:           8
        .value_kind:     by_value
      - .address_space:  global
        .offset:         56
        .size:           8
        .value_kind:     global_buffer
      - .address_space:  global
        .offset:         64
        .size:           8
        .value_kind:     global_buffer
    .group_segment_fixed_size: 2068
    .kernarg_segment_align: 8
    .kernarg_segment_size: 72
    .language:       OpenCL C
    .language_version:
      - 2
      - 0
    .max_flat_workgroup_size: 256
    .name:           _ZN9rocsolver6v33100L18lasyf_kernel_upperIfPfEEviiPiT0_iilS3_lS3_PT_
    .private_segment_fixed_size: 0
    .sgpr_count:     64
    .sgpr_spill_count: 0
    .symbol:         _ZN9rocsolver6v33100L18lasyf_kernel_upperIfPfEEviiPiT0_iilS3_lS3_PT_.kd
    .uniform_work_group_size: 1
    .uses_dynamic_stack: false
    .vgpr_count:     31
    .vgpr_spill_count: 0
    .wavefront_size: 32
    .workgroup_processor_mode: 1
  - .args:
      - .offset:         0
        .size:           4
        .value_kind:     by_value
      - .offset:         4
        .size:           4
        .value_kind:     by_value
      - .address_space:  global
        .offset:         8
        .size:           8
        .value_kind:     global_buffer
      - .address_space:  global
        .offset:         16
        .size:           8
        .value_kind:     global_buffer
      - .offset:         24
        .size:           4
        .value_kind:     by_value
      - .offset:         28
        .size:           4
        .value_kind:     by_value
      - .offset:         32
        .size:           8
        .value_kind:     by_value
      - .address_space:  global
        .offset:         40
        .size:           8
        .value_kind:     global_buffer
      - .offset:         48
        .size:           8
        .value_kind:     by_value
      - .address_space:  global
        .offset:         56
        .size:           8
        .value_kind:     global_buffer
      - .address_space:  global
        .offset:         64
        .size:           8
        .value_kind:     global_buffer
    .group_segment_fixed_size: 2068
    .kernarg_segment_align: 8
    .kernarg_segment_size: 72
    .language:       OpenCL C
    .language_version:
      - 2
      - 0
    .max_flat_workgroup_size: 256
    .name:           _ZN9rocsolver6v33100L18lasyf_kernel_lowerIfPfEEviiPiT0_iilS3_lS3_PT_
    .private_segment_fixed_size: 0
    .sgpr_count:     60
    .sgpr_spill_count: 0
    .symbol:         _ZN9rocsolver6v33100L18lasyf_kernel_lowerIfPfEEviiPiT0_iilS3_lS3_PT_.kd
    .uniform_work_group_size: 1
    .uses_dynamic_stack: false
    .vgpr_count:     45
    .vgpr_spill_count: 0
    .wavefront_size: 32
    .workgroup_processor_mode: 1
  - .args:
      - .offset:         0
        .size:           4
        .value_kind:     by_value
      - .offset:         4
        .size:           4
        .value_kind:     by_value
      - .address_space:  global
        .offset:         8
        .size:           8
        .value_kind:     global_buffer
      - .address_space:  global
        .offset:         16
        .size:           8
        .value_kind:     global_buffer
      - .offset:         24
        .size:           4
        .value_kind:     by_value
      - .offset:         28
        .size:           4
        .value_kind:     by_value
      - .offset:         32
        .size:           8
        .value_kind:     by_value
      - .address_space:  global
        .offset:         40
        .size:           8
        .value_kind:     global_buffer
      - .offset:         48
        .size:           8
        .value_kind:     by_value
      - .address_space:  global
        .offset:         56
        .size:           8
        .value_kind:     global_buffer
      - .address_space:  global
        .offset:         64
        .size:           8
        .value_kind:     global_buffer
    .group_segment_fixed_size: 3104
    .kernarg_segment_align: 8
    .kernarg_segment_size: 72
    .language:       OpenCL C
    .language_version:
      - 2
      - 0
    .max_flat_workgroup_size: 256
    .name:           _ZN9rocsolver6v33100L18lasyf_kernel_upperIdPdEEviiPiT0_iilS3_lS3_PT_
    .private_segment_fixed_size: 0
    .sgpr_count:     66
    .sgpr_spill_count: 0
    .symbol:         _ZN9rocsolver6v33100L18lasyf_kernel_upperIdPdEEviiPiT0_iilS3_lS3_PT_.kd
    .uniform_work_group_size: 1
    .uses_dynamic_stack: false
    .vgpr_count:     34
    .vgpr_spill_count: 0
    .wavefront_size: 32
    .workgroup_processor_mode: 1
  - .args:
      - .offset:         0
        .size:           4
        .value_kind:     by_value
      - .offset:         4
        .size:           4
        .value_kind:     by_value
      - .address_space:  global
        .offset:         8
        .size:           8
        .value_kind:     global_buffer
      - .address_space:  global
        .offset:         16
        .size:           8
        .value_kind:     global_buffer
      - .offset:         24
        .size:           4
        .value_kind:     by_value
      - .offset:         28
        .size:           4
        .value_kind:     by_value
      - .offset:         32
        .size:           8
        .value_kind:     by_value
      - .address_space:  global
        .offset:         40
        .size:           8
        .value_kind:     global_buffer
      - .offset:         48
        .size:           8
        .value_kind:     by_value
      - .address_space:  global
        .offset:         56
        .size:           8
        .value_kind:     global_buffer
      - .address_space:  global
        .offset:         64
        .size:           8
        .value_kind:     global_buffer
    .group_segment_fixed_size: 3104
    .kernarg_segment_align: 8
    .kernarg_segment_size: 72
    .language:       OpenCL C
    .language_version:
      - 2
      - 0
    .max_flat_workgroup_size: 256
    .name:           _ZN9rocsolver6v33100L18lasyf_kernel_lowerIdPdEEviiPiT0_iilS3_lS3_PT_
    .private_segment_fixed_size: 0
    .sgpr_count:     62
    .sgpr_spill_count: 0
    .symbol:         _ZN9rocsolver6v33100L18lasyf_kernel_lowerIdPdEEviiPiT0_iilS3_lS3_PT_.kd
    .uniform_work_group_size: 1
    .uses_dynamic_stack: false
    .vgpr_count:     49
    .vgpr_spill_count: 0
    .wavefront_size: 32
    .workgroup_processor_mode: 1
  - .args:
      - .offset:         0
        .size:           4
        .value_kind:     by_value
      - .offset:         4
        .size:           4
        .value_kind:     by_value
      - .address_space:  global
        .offset:         8
        .size:           8
        .value_kind:     global_buffer
      - .address_space:  global
        .offset:         16
        .size:           8
        .value_kind:     global_buffer
      - .offset:         24
        .size:           4
        .value_kind:     by_value
      - .offset:         28
        .size:           4
        .value_kind:     by_value
      - .offset:         32
        .size:           8
        .value_kind:     by_value
      - .address_space:  global
        .offset:         40
        .size:           8
        .value_kind:     global_buffer
      - .offset:         48
        .size:           8
        .value_kind:     by_value
      - .address_space:  global
        .offset:         56
        .size:           8
        .value_kind:     global_buffer
      - .address_space:  global
        .offset:         64
        .size:           8
        .value_kind:     global_buffer
    .group_segment_fixed_size: 2068
    .kernarg_segment_align: 8
    .kernarg_segment_size: 72
    .language:       OpenCL C
    .language_version:
      - 2
      - 0
    .max_flat_workgroup_size: 256
    .name:           _ZN9rocsolver6v33100L18lasyf_kernel_upperI19rocblas_complex_numIfEPS3_EEviiPiT0_iilS5_lS5_PT_
    .private_segment_fixed_size: 0
    .sgpr_count:     70
    .sgpr_spill_count: 0
    .symbol:         _ZN9rocsolver6v33100L18lasyf_kernel_upperI19rocblas_complex_numIfEPS3_EEviiPiT0_iilS5_lS5_PT_.kd
    .uniform_work_group_size: 1
    .uses_dynamic_stack: false
    .vgpr_count:     33
    .vgpr_spill_count: 0
    .wavefront_size: 32
    .workgroup_processor_mode: 1
  - .args:
      - .offset:         0
        .size:           4
        .value_kind:     by_value
      - .offset:         4
        .size:           4
        .value_kind:     by_value
      - .address_space:  global
        .offset:         8
        .size:           8
        .value_kind:     global_buffer
      - .address_space:  global
        .offset:         16
        .size:           8
        .value_kind:     global_buffer
      - .offset:         24
        .size:           4
        .value_kind:     by_value
      - .offset:         28
        .size:           4
        .value_kind:     by_value
      - .offset:         32
        .size:           8
        .value_kind:     by_value
      - .address_space:  global
        .offset:         40
        .size:           8
        .value_kind:     global_buffer
      - .offset:         48
        .size:           8
        .value_kind:     by_value
      - .address_space:  global
        .offset:         56
        .size:           8
        .value_kind:     global_buffer
      - .address_space:  global
        .offset:         64
        .size:           8
        .value_kind:     global_buffer
    .group_segment_fixed_size: 2068
    .kernarg_segment_align: 8
    .kernarg_segment_size: 72
    .language:       OpenCL C
    .language_version:
      - 2
      - 0
    .max_flat_workgroup_size: 256
    .name:           _ZN9rocsolver6v33100L18lasyf_kernel_lowerI19rocblas_complex_numIfEPS3_EEviiPiT0_iilS5_lS5_PT_
    .private_segment_fixed_size: 0
    .sgpr_count:     64
    .sgpr_spill_count: 0
    .symbol:         _ZN9rocsolver6v33100L18lasyf_kernel_lowerI19rocblas_complex_numIfEPS3_EEviiPiT0_iilS5_lS5_PT_.kd
    .uniform_work_group_size: 1
    .uses_dynamic_stack: false
    .vgpr_count:     51
    .vgpr_spill_count: 0
    .wavefront_size: 32
    .workgroup_processor_mode: 1
  - .args:
      - .offset:         0
        .size:           4
        .value_kind:     by_value
      - .offset:         4
        .size:           4
        .value_kind:     by_value
      - .address_space:  global
        .offset:         8
        .size:           8
        .value_kind:     global_buffer
      - .address_space:  global
        .offset:         16
        .size:           8
        .value_kind:     global_buffer
      - .offset:         24
        .size:           4
        .value_kind:     by_value
      - .offset:         28
        .size:           4
        .value_kind:     by_value
      - .offset:         32
        .size:           8
        .value_kind:     by_value
      - .address_space:  global
        .offset:         40
        .size:           8
        .value_kind:     global_buffer
      - .offset:         48
        .size:           8
        .value_kind:     by_value
      - .address_space:  global
        .offset:         56
        .size:           8
        .value_kind:     global_buffer
      - .address_space:  global
        .offset:         64
        .size:           8
        .value_kind:     global_buffer
    .group_segment_fixed_size: 15392
    .kernarg_segment_align: 8
    .kernarg_segment_size: 72
    .language:       OpenCL C
    .language_version:
      - 2
      - 0
    .max_flat_workgroup_size: 256
    .name:           _ZN9rocsolver6v33100L18lasyf_kernel_upperI19rocblas_complex_numIdEPS3_EEviiPiT0_iilS5_lS5_PT_
    .private_segment_fixed_size: 0
    .sgpr_count:     74
    .sgpr_spill_count: 0
    .symbol:         _ZN9rocsolver6v33100L18lasyf_kernel_upperI19rocblas_complex_numIdEPS3_EEviiPiT0_iilS5_lS5_PT_.kd
    .uniform_work_group_size: 1
    .uses_dynamic_stack: false
    .vgpr_count:     45
    .vgpr_spill_count: 0
    .wavefront_size: 32
    .workgroup_processor_mode: 1
  - .args:
      - .offset:         0
        .size:           4
        .value_kind:     by_value
      - .offset:         4
        .size:           4
        .value_kind:     by_value
      - .address_space:  global
        .offset:         8
        .size:           8
        .value_kind:     global_buffer
      - .address_space:  global
        .offset:         16
        .size:           8
        .value_kind:     global_buffer
      - .offset:         24
        .size:           4
        .value_kind:     by_value
      - .offset:         28
        .size:           4
        .value_kind:     by_value
      - .offset:         32
        .size:           8
        .value_kind:     by_value
      - .address_space:  global
        .offset:         40
        .size:           8
        .value_kind:     global_buffer
      - .offset:         48
        .size:           8
        .value_kind:     by_value
      - .address_space:  global
        .offset:         56
        .size:           8
        .value_kind:     global_buffer
      - .address_space:  global
        .offset:         64
        .size:           8
        .value_kind:     global_buffer
    .group_segment_fixed_size: 15392
    .kernarg_segment_align: 8
    .kernarg_segment_size: 72
    .language:       OpenCL C
    .language_version:
      - 2
      - 0
    .max_flat_workgroup_size: 256
    .name:           _ZN9rocsolver6v33100L18lasyf_kernel_lowerI19rocblas_complex_numIdEPS3_EEviiPiT0_iilS5_lS5_PT_
    .private_segment_fixed_size: 0
    .sgpr_count:     66
    .sgpr_spill_count: 0
    .symbol:         _ZN9rocsolver6v33100L18lasyf_kernel_lowerI19rocblas_complex_numIdEPS3_EEviiPiT0_iilS5_lS5_PT_.kd
    .uniform_work_group_size: 1
    .uses_dynamic_stack: false
    .vgpr_count:     61
    .vgpr_spill_count: 0
    .wavefront_size: 32
    .workgroup_processor_mode: 1
amdhsa.target:   amdgcn-amd-amdhsa--gfx1030
amdhsa.version:
  - 1
  - 2
...

	.end_amdgpu_metadata
